;; amdgpu-corpus repo=ROCm/rocFFT kind=compiled arch=gfx1030 opt=O3
	.text
	.amdgcn_target "amdgcn-amd-amdhsa--gfx1030"
	.amdhsa_code_object_version 6
	.protected	fft_rtc_fwd_len169_factors_13_13_wgs_156_tpt_13_dp_ip_CI_sbcc_twdbase6_3step_dirReg_intrinsicRead ; -- Begin function fft_rtc_fwd_len169_factors_13_13_wgs_156_tpt_13_dp_ip_CI_sbcc_twdbase6_3step_dirReg_intrinsicRead
	.globl	fft_rtc_fwd_len169_factors_13_13_wgs_156_tpt_13_dp_ip_CI_sbcc_twdbase6_3step_dirReg_intrinsicRead
	.p2align	8
	.type	fft_rtc_fwd_len169_factors_13_13_wgs_156_tpt_13_dp_ip_CI_sbcc_twdbase6_3step_dirReg_intrinsicRead,@function
fft_rtc_fwd_len169_factors_13_13_wgs_156_tpt_13_dp_ip_CI_sbcc_twdbase6_3step_dirReg_intrinsicRead: ; @fft_rtc_fwd_len169_factors_13_13_wgs_156_tpt_13_dp_ip_CI_sbcc_twdbase6_3step_dirReg_intrinsicRead
; %bb.0:
	s_clause 0x2
	s_load_dwordx2 s[16:17], s[4:5], 0x58
	s_load_dwordx2 s[20:21], s[4:5], 0x0
	s_load_dwordx8 s[8:15], s[4:5], 0x8
	s_mov_b64 s[50:51], s[2:3]
	s_mov_b64 s[48:49], s[0:1]
	v_mov_b32_e32 v10, v0
	s_add_u32 s48, s48, s7
	s_addc_u32 s49, s49, 0
	s_mov_b32 s1, exec_lo
	v_cmpx_gt_u32_e32 0xc0, v10
	s_cbranch_execz .LBB0_3
; %bb.1:
	v_lshlrev_b32_e32 v0, 4, v10
	v_add_co_u32 v1, s0, 0xffffff64, v10
	v_add_co_ci_u32_e64 v2, null, 0, -1, s0
	s_waitcnt lgkmcnt(0)
	v_add_co_u32 v3, s0, s8, v0
	v_add_co_ci_u32_e64 v4, null, s9, 0, s0
	v_add3_u32 v5, v0, 0, 0x7ec0
	s_mov_b32 s2, 0
	.p2align	6
.LBB0_2:                                ; =>This Inner Loop Header: Depth=1
	global_load_dwordx4 v[6:9], v[3:4], off
	v_add_co_u32 v1, vcc_lo, 0x9c, v1
	v_add_co_ci_u32_e32 v2, vcc_lo, 0, v2, vcc_lo
	v_add_co_u32 v3, vcc_lo, 0x9c0, v3
	v_add_co_ci_u32_e32 v4, vcc_lo, 0, v4, vcc_lo
	v_cmp_lt_u64_e64 s0, 35, v[1:2]
	s_or_b32 s2, s0, s2
	s_waitcnt vmcnt(0)
	ds_write2_b64 v5, v[6:7], v[8:9] offset1:1
	v_add_nc_u32_e32 v5, 0x9c0, v5
	s_andn2_b32 exec_lo, exec_lo, s2
	s_cbranch_execnz .LBB0_2
.LBB0_3:
	s_or_b32 exec_lo, exec_lo, s1
	s_waitcnt lgkmcnt(0)
	s_load_dwordx2 s[8:9], s[12:13], 0x8
	s_waitcnt lgkmcnt(0)
	s_add_u32 s0, s8, -1
	s_addc_u32 s1, s9, -1
	s_add_u32 s2, 0, 0x55540000
	s_addc_u32 s3, 0, 0x55
	s_mul_hi_u32 s5, s2, -12
	s_add_i32 s3, s3, 0x15555500
	s_sub_i32 s5, s5, s2
	s_mul_i32 s18, s3, -12
	s_mul_i32 s4, s2, -12
	s_add_i32 s5, s5, s18
	s_mul_hi_u32 s7, s2, s4
	s_mul_i32 s22, s2, s5
	s_mul_hi_u32 s18, s2, s5
	s_mul_hi_u32 s19, s3, s4
	s_mul_i32 s4, s3, s4
	s_add_u32 s7, s7, s22
	s_addc_u32 s18, 0, s18
	s_mul_hi_u32 s23, s3, s5
	s_add_u32 s4, s7, s4
	s_mul_i32 s5, s3, s5
	s_addc_u32 s4, s18, s19
	s_addc_u32 s7, s23, 0
	s_add_u32 s4, s4, s5
	v_add_co_u32 v0, s2, s2, s4
	s_addc_u32 s4, 0, s7
	s_cmp_lg_u32 s2, 0
	s_addc_u32 s2, s3, s4
	v_readfirstlane_b32 s3, v0
	s_mul_i32 s5, s0, s2
	s_mul_hi_u32 s4, s0, s2
	s_mul_hi_u32 s7, s1, s2
	s_mul_i32 s2, s1, s2
	s_mul_hi_u32 s18, s0, s3
	s_mul_hi_u32 s19, s1, s3
	s_mul_i32 s3, s1, s3
	s_add_u32 s5, s18, s5
	s_addc_u32 s4, 0, s4
	s_add_u32 s3, s5, s3
	s_addc_u32 s3, s4, s19
	s_addc_u32 s4, s7, 0
	s_add_u32 s2, s3, s2
	s_addc_u32 s3, 0, s4
	s_mul_i32 s5, s2, 12
	s_add_u32 s4, s2, 1
	v_sub_co_u32 v0, s0, s0, s5
	s_mul_hi_u32 s5, s2, 12
	s_addc_u32 s7, s3, 0
	s_mul_i32 s18, s3, 12
	v_sub_co_u32 v1, s19, v0, 12
	s_add_u32 s22, s2, 2
	s_addc_u32 s23, s3, 0
	s_add_i32 s5, s5, s18
	s_cmp_lg_u32 s0, 0
	v_readfirstlane_b32 s0, v1
	s_subb_u32 s1, s1, s5
	s_cmp_lg_u32 s19, 0
	s_subb_u32 s5, s1, 0
	s_cmp_gt_u32 s0, 11
	s_cselect_b32 s0, -1, 0
	s_cmp_eq_u32 s5, 0
	v_readfirstlane_b32 s5, v0
	s_cselect_b32 s0, s0, -1
	s_cmp_lg_u32 s0, 0
	s_cselect_b32 s0, s22, s4
	s_cselect_b32 s4, s23, s7
	s_cmp_gt_u32 s5, 11
	s_mov_b32 s7, 0
	s_cselect_b32 s5, -1, 0
	s_cmp_eq_u32 s1, 0
	s_cselect_b32 s1, s5, -1
	s_cmp_lg_u32 s1, 0
	s_cselect_b32 s0, s0, s2
	s_cselect_b32 s1, s4, s3
	s_add_u32 s18, s0, 1
	s_addc_u32 s19, s1, 0
	s_mov_b64 s[4:5], 0
	v_cmp_lt_u64_e64 s0, s[6:7], s[18:19]
	s_and_b32 vcc_lo, exec_lo, s0
	s_cbranch_vccnz .LBB0_5
; %bb.4:
	v_cvt_f32_u32_e32 v0, s18
	s_sub_i32 s1, 0, s18
	s_mov_b32 s5, s7
	v_rcp_iflag_f32_e32 v0, v0
	v_mul_f32_e32 v0, 0x4f7ffffe, v0
	v_cvt_u32_f32_e32 v0, v0
	v_readfirstlane_b32 s0, v0
	s_mul_i32 s1, s1, s0
	s_mul_hi_u32 s1, s0, s1
	s_add_i32 s0, s0, s1
	s_mul_hi_u32 s0, s6, s0
	s_mul_i32 s1, s0, s18
	s_add_i32 s2, s0, 1
	s_sub_i32 s1, s6, s1
	s_sub_i32 s3, s1, s18
	s_cmp_ge_u32 s1, s18
	s_cselect_b32 s0, s2, s0
	s_cselect_b32 s1, s3, s1
	s_add_i32 s2, s0, 1
	s_cmp_ge_u32 s1, s18
	s_cselect_b32 s4, s2, s0
.LBB0_5:
	s_load_dwordx4 s[0:3], s[14:15], 0x0
	s_mul_i32 s22, s4, s19
	s_mul_hi_u32 s23, s4, s18
	s_mul_i32 s24, s4, s18
	s_add_i32 s23, s23, s22
	s_sub_u32 s34, s6, s24
	s_subb_u32 s22, 0, s23
	s_mul_hi_u32 s33, s34, 12
	s_mul_i32 s22, s22, 12
	v_cmp_lt_u64_e64 s25, s[10:11], 3
	s_mul_i32 s34, s34, 12
	s_add_i32 s33, s33, s22
	s_and_b32 vcc_lo, exec_lo, s25
	s_waitcnt lgkmcnt(0)
	s_mul_i32 s22, s2, s33
	s_mul_hi_u32 s23, s2, s34
	s_mul_i32 s24, s3, s34
	s_add_i32 s22, s23, s22
	s_mul_i32 s35, s2, s34
	s_add_i32 s36, s22, s24
	s_cbranch_vccnz .LBB0_15
; %bb.6:
	s_add_u32 s22, s14, 16
	s_addc_u32 s23, s15, 0
	s_add_u32 s12, s12, 16
	s_addc_u32 s13, s13, 0
	s_mov_b64 s[24:25], 2
	s_mov_b32 s26, 0
.LBB0_7:                                ; =>This Inner Loop Header: Depth=1
	s_load_dwordx2 s[28:29], s[12:13], 0x0
	s_waitcnt lgkmcnt(0)
	s_or_b64 s[30:31], s[4:5], s[28:29]
	s_mov_b32 s27, s31
                                        ; implicit-def: $sgpr30_sgpr31
	s_cmp_lg_u64 s[26:27], 0
	s_mov_b32 s27, -1
	s_cbranch_scc0 .LBB0_9
; %bb.8:                                ;   in Loop: Header=BB0_7 Depth=1
	v_cvt_f32_u32_e32 v0, s28
	v_cvt_f32_u32_e32 v1, s29
	s_sub_u32 s31, 0, s28
	s_subb_u32 s37, 0, s29
	v_fmac_f32_e32 v0, 0x4f800000, v1
	v_rcp_f32_e32 v0, v0
	v_mul_f32_e32 v0, 0x5f7ffffc, v0
	v_mul_f32_e32 v1, 0x2f800000, v0
	v_trunc_f32_e32 v1, v1
	v_fmac_f32_e32 v0, 0xcf800000, v1
	v_cvt_u32_f32_e32 v1, v1
	v_cvt_u32_f32_e32 v0, v0
	v_readfirstlane_b32 s27, v1
	v_readfirstlane_b32 s30, v0
	s_mul_i32 s38, s31, s27
	s_mul_hi_u32 s40, s31, s30
	s_mul_i32 s39, s37, s30
	s_add_i32 s38, s40, s38
	s_mul_i32 s41, s31, s30
	s_add_i32 s38, s38, s39
	s_mul_hi_u32 s40, s30, s41
	s_mul_hi_u32 s42, s27, s41
	s_mul_i32 s39, s27, s41
	s_mul_hi_u32 s41, s30, s38
	s_mul_i32 s30, s30, s38
	s_mul_hi_u32 s43, s27, s38
	s_add_u32 s30, s40, s30
	s_addc_u32 s40, 0, s41
	s_add_u32 s30, s30, s39
	s_mul_i32 s38, s27, s38
	s_addc_u32 s30, s40, s42
	s_addc_u32 s39, s43, 0
	s_add_u32 s30, s30, s38
	s_addc_u32 s38, 0, s39
	v_add_co_u32 v0, s30, v0, s30
	s_cmp_lg_u32 s30, 0
	s_addc_u32 s27, s27, s38
	v_readfirstlane_b32 s30, v0
	s_mul_i32 s38, s31, s27
	s_mul_hi_u32 s39, s31, s30
	s_mul_i32 s37, s37, s30
	s_add_i32 s38, s39, s38
	s_mul_i32 s31, s31, s30
	s_add_i32 s38, s38, s37
	s_mul_hi_u32 s39, s27, s31
	s_mul_i32 s40, s27, s31
	s_mul_hi_u32 s31, s30, s31
	s_mul_hi_u32 s41, s30, s38
	s_mul_i32 s30, s30, s38
	s_mul_hi_u32 s37, s27, s38
	s_add_u32 s30, s31, s30
	s_addc_u32 s31, 0, s41
	s_add_u32 s30, s30, s40
	s_mul_i32 s38, s27, s38
	s_addc_u32 s30, s31, s39
	s_addc_u32 s31, s37, 0
	s_add_u32 s30, s30, s38
	s_addc_u32 s31, 0, s31
	v_add_co_u32 v0, s30, v0, s30
	s_cmp_lg_u32 s30, 0
	s_addc_u32 s27, s27, s31
	v_readfirstlane_b32 s30, v0
	s_mul_i32 s37, s4, s27
	s_mul_hi_u32 s31, s4, s27
	s_mul_hi_u32 s38, s5, s27
	s_mul_i32 s27, s5, s27
	s_mul_hi_u32 s39, s4, s30
	s_mul_hi_u32 s40, s5, s30
	s_mul_i32 s30, s5, s30
	s_add_u32 s37, s39, s37
	s_addc_u32 s31, 0, s31
	s_add_u32 s30, s37, s30
	s_addc_u32 s30, s31, s40
	s_addc_u32 s31, s38, 0
	s_add_u32 s30, s30, s27
	s_addc_u32 s31, 0, s31
	s_mul_hi_u32 s27, s28, s30
	s_mul_i32 s38, s28, s31
	s_mul_i32 s39, s28, s30
	s_add_i32 s27, s27, s38
	v_sub_co_u32 v0, s38, s4, s39
	s_mul_i32 s37, s29, s30
	s_add_i32 s27, s27, s37
	v_sub_co_u32 v1, s39, v0, s28
	s_sub_i32 s37, s5, s27
	s_cmp_lg_u32 s38, 0
	s_subb_u32 s37, s37, s29
	s_cmp_lg_u32 s39, 0
	v_readfirstlane_b32 s39, v1
	s_subb_u32 s37, s37, 0
	s_cmp_ge_u32 s37, s29
	s_cselect_b32 s40, -1, 0
	s_cmp_ge_u32 s39, s28
	s_cselect_b32 s39, -1, 0
	s_cmp_eq_u32 s37, s29
	s_cselect_b32 s37, s39, s40
	s_add_u32 s39, s30, 1
	s_addc_u32 s40, s31, 0
	s_add_u32 s41, s30, 2
	s_addc_u32 s42, s31, 0
	s_cmp_lg_u32 s37, 0
	s_cselect_b32 s37, s41, s39
	s_cselect_b32 s39, s42, s40
	s_cmp_lg_u32 s38, 0
	v_readfirstlane_b32 s38, v0
	s_subb_u32 s27, s5, s27
	s_cmp_ge_u32 s27, s29
	s_cselect_b32 s40, -1, 0
	s_cmp_ge_u32 s38, s28
	s_cselect_b32 s38, -1, 0
	s_cmp_eq_u32 s27, s29
	s_cselect_b32 s27, s38, s40
	s_cmp_lg_u32 s27, 0
	s_mov_b32 s27, 0
	s_cselect_b32 s31, s39, s31
	s_cselect_b32 s30, s37, s30
.LBB0_9:                                ;   in Loop: Header=BB0_7 Depth=1
	s_andn2_b32 vcc_lo, exec_lo, s27
	s_cbranch_vccnz .LBB0_11
; %bb.10:                               ;   in Loop: Header=BB0_7 Depth=1
	v_cvt_f32_u32_e32 v0, s28
	s_sub_i32 s30, 0, s28
	v_rcp_iflag_f32_e32 v0, v0
	v_mul_f32_e32 v0, 0x4f7ffffe, v0
	v_cvt_u32_f32_e32 v0, v0
	v_readfirstlane_b32 s27, v0
	s_mul_i32 s30, s30, s27
	s_mul_hi_u32 s30, s27, s30
	s_add_i32 s27, s27, s30
	s_mul_hi_u32 s27, s4, s27
	s_mul_i32 s30, s27, s28
	s_add_i32 s31, s27, 1
	s_sub_i32 s30, s4, s30
	s_sub_i32 s37, s30, s28
	s_cmp_ge_u32 s30, s28
	s_cselect_b32 s27, s31, s27
	s_cselect_b32 s30, s37, s30
	s_add_i32 s31, s27, 1
	s_cmp_ge_u32 s30, s28
	s_cselect_b32 s30, s31, s27
	s_mov_b32 s31, s26
.LBB0_11:                               ;   in Loop: Header=BB0_7 Depth=1
	s_load_dwordx2 s[38:39], s[22:23], 0x0
	s_mul_i32 s19, s28, s19
	s_mul_hi_u32 s27, s28, s18
	s_mul_i32 s37, s29, s18
	s_mul_i32 s29, s30, s29
	s_mul_hi_u32 s40, s30, s28
	s_mul_i32 s41, s31, s28
	s_add_i32 s19, s27, s19
	s_add_i32 s27, s40, s29
	s_mul_i32 s42, s30, s28
	s_add_i32 s19, s19, s37
	s_add_i32 s27, s27, s41
	s_sub_u32 s4, s4, s42
	s_subb_u32 s5, s5, s27
	s_mul_i32 s18, s28, s18
	s_waitcnt lgkmcnt(0)
	s_mul_i32 s5, s38, s5
	s_mul_hi_u32 s27, s38, s4
	s_add_i32 s5, s27, s5
	s_mul_i32 s27, s39, s4
	s_mul_i32 s4, s38, s4
	s_add_i32 s5, s5, s27
	s_add_u32 s35, s4, s35
	s_addc_u32 s36, s5, s36
	s_add_u32 s24, s24, 1
	s_addc_u32 s25, s25, 0
	s_add_u32 s22, s22, 8
	v_cmp_ge_u64_e64 s4, s[24:25], s[10:11]
	s_addc_u32 s23, s23, 0
	s_add_u32 s12, s12, 8
	s_addc_u32 s13, s13, 0
	s_and_b32 vcc_lo, exec_lo, s4
	s_cbranch_vccnz .LBB0_13
; %bb.12:                               ;   in Loop: Header=BB0_7 Depth=1
	s_mov_b64 s[4:5], s[30:31]
	s_branch .LBB0_7
.LBB0_13:
	v_cmp_lt_u64_e64 s4, s[6:7], s[18:19]
	s_and_b32 vcc_lo, exec_lo, s4
	s_mov_b64 s[4:5], 0
	s_cbranch_vccnz .LBB0_15
; %bb.14:
	v_cvt_f32_u32_e32 v0, s18
	s_sub_i32 s5, 0, s18
	v_rcp_iflag_f32_e32 v0, v0
	v_mul_f32_e32 v0, 0x4f7ffffe, v0
	v_cvt_u32_f32_e32 v0, v0
	v_readfirstlane_b32 s4, v0
	s_mul_i32 s5, s5, s4
	s_mul_hi_u32 s5, s4, s5
	s_add_i32 s4, s4, s5
	s_mul_hi_u32 s4, s6, s4
	s_mul_i32 s5, s4, s18
	s_sub_i32 s5, s6, s5
	s_add_i32 s6, s4, 1
	s_sub_i32 s7, s5, s18
	s_cmp_ge_u32 s5, s18
	s_cselect_b32 s4, s6, s4
	s_cselect_b32 s5, s7, s5
	s_add_i32 s6, s4, 1
	s_cmp_ge_u32 s5, s18
	s_cselect_b32 s4, s6, s4
.LBB0_15:
	s_lshl_b64 s[6:7], s[10:11], 3
	v_mul_hi_u32 v212, 0x15555556, v10
	s_add_u32 s6, s14, s6
	s_addc_u32 s7, s15, s7
	buffer_store_dword v10, off, s[48:51], 0 offset:316 ; 4-byte Folded Spill
	s_load_dwordx2 s[6:7], s[6:7], 0x0
	s_mov_b32 s19, 0x31014000
	s_mov_b32 s18, -2
	s_mov_b32 s24, 0x42a4c3d2
	v_mul_u32_u24_e32 v0, 12, v212
	v_add_nc_u32_e32 v5, 52, v212
	v_add_nc_u32_e32 v3, 26, v212
	;; [unrolled: 1-line block ×4, first 2 shown]
	v_sub_nc_u32_e32 v8, v10, v0
	v_add_nc_u32_e32 v0, 0x4e, v212
	v_mul_lo_u32 v5, s0, v5
	v_add_nc_u32_e32 v6, 0x41, v212
	v_add_nc_u32_e32 v7, 0x5b, v212
	v_add_co_u32 v215, s5, s34, v8
	v_add_co_ci_u32_e64 v216, null, s33, 0, s5
	v_mad_u64_u32 v[19:20], null, s2, v8, 0
	s_waitcnt lgkmcnt(0)
	s_mul_i32 s2, s7, s4
	s_mul_hi_u32 s5, s6, s4
	s_mul_i32 s4, s6, s4
	s_add_i32 s5, s5, s2
	s_add_u32 s4, s4, s35
	s_addc_u32 s5, s5, s36
	s_add_u32 s6, s34, 12
	s_addc_u32 s7, s33, 0
	v_cmp_gt_u64_e32 vcc_lo, s[8:9], v[215:216]
	v_cmp_le_u64_e64 s6, s[6:7], s[8:9]
	v_mul_lo_u32 v9, s0, v3
	v_mul_lo_u32 v0, s0, v0
	v_add_lshl_u32 v11, v19, v5, 4
	v_mul_lo_u32 v2, s0, v212
	v_mul_lo_u32 v1, s0, v1
	;; [unrolled: 1-line block ×5, first 2 shown]
	s_or_b32 vcc_lo, s6, vcc_lo
	v_add_lshl_u32 v13, v19, v9, 4
	v_cndmask_b32_e32 v9, -1, v11, vcc_lo
	v_add_lshl_u32 v11, v19, v0, 4
	v_add_nc_u32_e32 v0, 0x9c, v212
	v_add_nc_u32_e32 v15, 0x68, v212
	v_add_lshl_u32 v2, v19, v2, 4
	v_add_lshl_u32 v1, v19, v1, 4
	;; [unrolled: 1-line block ×5, first 2 shown]
	v_mul_lo_u32 v0, s0, v0
	v_mul_lo_u32 v15, s0, v15
	v_cndmask_b32_e32 v2, -1, v2, vcc_lo
	v_cndmask_b32_e32 v11, -1, v11, vcc_lo
	buffer_store_dword v8, off, s[48:51], 0 ; 4-byte Folded Spill
	v_cndmask_b32_e32 v8, -1, v1, vcc_lo
	v_add_nc_u32_e32 v16, 0x75, v212
	v_cndmask_b32_e32 v12, -1, v12, vcc_lo
	v_add_nc_u32_e32 v17, 0x82, v212
	s_lshl_b32 s2, s4, 4
	v_add_lshl_u32 v0, v19, v0, 4
	s_clause 0x3
	buffer_load_dwordx4 v[1:4], v2, s[16:19], s2 offen
	buffer_load_dwordx4 v[5:8], v8, s[16:19], s2 offen
	;; [unrolled: 1-line block ×4, first 2 shown]
	v_add_lshl_u32 v11, v19, v15, 4
	v_mul_lo_u32 v16, s0, v16
	v_mul_lo_u32 v15, s0, v17
	v_add_nc_u32_e32 v12, 0x8f, v212
	v_cndmask_b32_e32 v0, -1, v0, vcc_lo
	v_cndmask_b32_e32 v10, -1, v10, vcc_lo
	;; [unrolled: 1-line block ×3, first 2 shown]
	s_clause 0x1
	buffer_load_dwordx4 v[46:49], v9, s[16:19], s2 offen
	buffer_load_dwordx4 v[37:40], v10, s[16:19], s2 offen
	v_add_lshl_u32 v16, v19, v16, 4
	v_mul_lo_u32 v18, s0, v12
	v_add_lshl_u32 v15, v19, v15, 4
	s_clause 0x1
	buffer_load_dwordx4 v[9:12], v0, s[16:19], s2 offen
	buffer_load_dwordx4 v[25:28], v17, s[16:19], s2 offen
	buffer_store_dword v19, off, s[48:51], 0 offset:308 ; 4-byte Folded Spill
	buffer_store_dword v20, off, s[48:51], 0 offset:312 ; 4-byte Folded Spill
	v_cndmask_b32_e32 v16, -1, v16, vcc_lo
	v_cndmask_b32_e32 v14, -1, v14, vcc_lo
	;; [unrolled: 1-line block ×4, first 2 shown]
	s_mov_b32 s25, 0xbfea55e2
	buffer_load_dwordx4 v[21:24], v16, s[16:19], s2 offen
	s_mov_b32 s30, 0x1ea71119
	s_mov_b32 s31, 0x3fe22d96
	s_mov_b32 s26, 0xebaa3ed8
	s_mov_b32 s27, 0x3fbedb7d
	s_mov_b32 s10, 0x2ef20147
	s_mov_b32 s11, 0xbfedeba7
	s_mov_b32 s28, 0xb2365da1
	s_mov_b32 s29, 0xbfd6b1d8
	s_mov_b32 s6, 0x4bc48dbf
	s_mov_b32 s7, 0xbfcea1e5
	s_mov_b32 s12, 0x93053d00
	s_mov_b32 s13, 0xbfef11f4
	s_mov_b32 s8, 0x24c2f84
	s_mov_b32 s9, 0xbfe5384d
	s_mov_b32 s39, 0x3fe5384d
	s_mov_b32 s38, s8
	s_mov_b32 s22, 0xd0032e0c
	s_mov_b32 s23, 0xbfe7f3cc
	s_mov_b32 s43, 0x3fedeba7
	s_mov_b32 s42, s10
	s_mov_b32 s34, 0x4267c47c
	s_mov_b32 s35, 0xbfddbe06
	s_mov_b32 s37, 0x3fddbe06
	s_mov_b32 s36, s34
	s_mov_b32 s14, 0xe00740e9
	s_mov_b32 s15, 0x3fec55a7
	s_mov_b32 s47, 0x3fcea1e5
	s_mov_b32 s46, s6
	s_mov_b32 s41, 0x3fefc445
	s_mov_b32 s45, 0x3fea55e2
	s_mov_b32 s44, s24
	s_waitcnt vmcnt(7)
	v_add_f64 v[58:59], v[1:2], v[5:6]
	v_add_f64 v[60:61], v[3:4], v[7:8]
	s_waitcnt vmcnt(5)
	v_add_f64 v[62:63], v[33:34], v[29:30]
	v_add_f64 v[66:67], v[33:34], -v[29:30]
	v_add_f64 v[68:69], v[35:36], -v[31:32]
	v_add_f64 v[64:65], v[35:36], v[31:32]
	s_waitcnt vmcnt(2)
	v_add_f64 v[70:71], v[7:8], -v[11:12]
	v_add_lshl_u32 v0, v19, v18, 4
	v_add_f64 v[82:83], v[5:6], -v[9:10]
	v_add_f64 v[5:6], v[5:6], v[9:10]
	s_waitcnt vmcnt(1)
	v_add_f64 v[78:79], v[39:40], -v[27:28]
	v_add_f64 v[7:8], v[7:8], v[11:12]
	v_cndmask_b32_e32 v0, -1, v0, vcc_lo
	s_clause 0x3
	buffer_load_dwordx4 v[50:53], v14, s[16:19], s2 offen
	buffer_load_dwordx4 v[17:20], v15, s[16:19], s2 offen
	;; [unrolled: 1-line block ×4, first 2 shown]
	s_mov_b32 s18, 0x66966769
	s_mov_b32 s19, 0xbfefc445
	s_waitcnt vmcnt(4)
	v_add_f64 v[88:89], v[48:49], -v[23:24]
	v_add_f64 v[80:81], v[46:47], v[21:22]
	v_add_f64 v[86:87], v[46:47], -v[21:22]
	v_add_f64 v[84:85], v[48:49], v[23:24]
	v_add_f64 v[72:73], v[37:38], v[25:26]
	v_add_f64 v[76:77], v[37:38], -v[25:26]
	s_mov_b32 s40, s18
	v_add_f64 v[74:75], v[39:40], v[27:28]
	v_mul_f64 v[108:109], v[70:71], s[18:19]
	v_mul_f64 v[110:111], v[70:71], s[10:11]
	;; [unrolled: 1-line block ×22, first 2 shown]
	v_fma_f64 v[194:195], v[5:6], s[26:27], -v[108:109]
	v_fma_f64 v[108:109], v[5:6], s[26:27], v[108:109]
	v_fma_f64 v[196:197], v[5:6], s[28:29], -v[110:111]
	v_fma_f64 v[110:111], v[5:6], s[28:29], v[110:111]
	v_fma_f64 v[198:199], v[5:6], s[22:23], -v[112:113]
	v_fma_f64 v[112:113], v[5:6], s[22:23], v[112:113]
	v_fma_f64 v[202:203], v[7:8], s[30:31], v[116:117]
	v_fma_f64 v[116:117], v[7:8], s[30:31], -v[116:117]
	v_fma_f64 v[204:205], v[7:8], s[26:27], v[118:119]
	v_fma_f64 v[118:119], v[7:8], s[26:27], -v[118:119]
	;; [unrolled: 2-line block ×4, first 2 shown]
	v_fma_f64 v[210:211], v[7:8], s[12:13], v[82:83]
	v_mul_f64 v[190:191], v[86:87], s[46:47]
	v_mul_f64 v[192:193], v[78:79], s[36:37]
	;; [unrolled: 1-line block ×5, first 2 shown]
	v_fma_f64 v[252:253], v[72:73], s[30:31], -v[164:165]
	v_fma_f64 v[164:165], v[72:73], s[30:31], v[164:165]
	v_add_f64 v[194:195], v[1:2], v[194:195]
	v_fma_f64 v[254:255], v[72:73], s[12:13], -v[178:179]
	v_add_f64 v[196:197], v[1:2], v[196:197]
	v_fma_f64 v[178:179], v[72:73], s[12:13], v[178:179]
	v_add_f64 v[198:199], v[1:2], v[198:199]
	v_add_f64 v[202:203], v[3:4], v[202:203]
	;; [unrolled: 1-line block ×6, first 2 shown]
	v_fma_f64 v[242:243], v[84:85], s[12:13], v[190:191]
	s_waitcnt vmcnt(2)
	v_add_f64 v[98:99], v[52:53], -v[19:20]
	v_add_f64 v[90:91], v[50:51], v[17:18]
	s_waitcnt vmcnt(0)
	v_add_f64 v[94:95], v[56:57], -v[15:16]
	v_add_f64 v[104:105], v[54:55], v[13:14]
	v_add_f64 v[96:97], v[54:55], -v[13:14]
	v_add_f64 v[106:107], v[56:57], v[15:16]
	;; [unrolled: 2-line block ×3, first 2 shown]
	v_add_f64 v[54:55], v[58:59], v[54:55]
	v_add_f64 v[56:57], v[60:61], v[56:57]
	v_mul_f64 v[58:59], v[70:71], s[34:35]
	v_mul_f64 v[60:61], v[70:71], s[24:25]
	;; [unrolled: 1-line block ×15, first 2 shown]
	v_add_f64 v[50:51], v[54:55], v[50:51]
	v_mul_f64 v[152:153], v[94:95], s[6:7]
	v_mul_f64 v[166:167], v[94:95], s[38:39]
	v_add_f64 v[52:53], v[56:57], v[52:53]
	v_fma_f64 v[54:55], v[5:6], s[14:15], -v[58:59]
	v_fma_f64 v[56:57], v[5:6], s[14:15], v[58:59]
	v_fma_f64 v[58:59], v[5:6], s[30:31], -v[60:61]
	v_fma_f64 v[60:61], v[5:6], s[30:31], v[60:61]
	;; [unrolled: 2-line block ×3, first 2 shown]
	v_mul_f64 v[154:155], v[96:97], s[6:7]
	v_mul_f64 v[168:169], v[96:97], s[38:39]
	v_fma_f64 v[41:42], v[104:105], s[30:31], -v[124:125]
	v_fma_f64 v[70:71], v[7:8], s[14:15], v[114:115]
	v_fma_f64 v[114:115], v[7:8], s[14:15], -v[114:115]
	v_fma_f64 v[7:8], v[7:8], s[12:13], -v[82:83]
	v_mul_f64 v[180:181], v[94:95], s[40:41]
	buffer_store_dword v41, off, s[48:51], 0 offset:236 ; 4-byte Folded Spill
	buffer_store_dword v42, off, s[48:51], 0 offset:240 ; 4-byte Folded Spill
	v_fma_f64 v[41:42], v[106:107], s[30:31], v[126:127]
	v_add_f64 v[46:47], v[50:51], v[46:47]
	v_fma_f64 v[238:239], v[104:105], s[12:13], -v[152:153]
	v_fma_f64 v[232:233], v[104:105], s[12:13], v[152:153]
	v_fma_f64 v[230:231], v[104:105], s[22:23], -v[166:167]
	buffer_store_dword v41, off, s[48:51], 0 offset:244 ; 4-byte Folded Spill
	buffer_store_dword v42, off, s[48:51], 0 offset:248 ; 4-byte Folded Spill
	v_fma_f64 v[41:42], v[90:91], s[26:27], -v[128:129]
	v_fma_f64 v[226:227], v[104:105], s[22:23], v[166:167]
	v_add_f64 v[222:223], v[1:2], v[56:57]
	v_add_f64 v[152:153], v[1:2], v[58:59]
	;; [unrolled: 1-line block ×3, first 2 shown]
	buffer_store_dword v41, off, s[48:51], 0 offset:124 ; 4-byte Folded Spill
	buffer_store_dword v42, off, s[48:51], 0 offset:128 ; 4-byte Folded Spill
	v_fma_f64 v[41:42], v[92:93], s[26:27], v[130:131]
	v_add_f64 v[166:167], v[1:2], v[5:6]
	v_add_f64 v[37:38], v[46:47], v[37:38]
	v_mul_f64 v[182:183], v[96:97], s[40:41]
	v_mul_f64 v[184:185], v[98:99], s[24:25]
	buffer_store_dword v41, off, s[48:51], 0 offset:148 ; 4-byte Folded Spill
	buffer_store_dword v42, off, s[48:51], 0 offset:152 ; 4-byte Folded Spill
	v_fma_f64 v[41:42], v[80:81], s[28:29], -v[132:133]
	v_mul_f64 v[186:187], v[102:103], s[24:25]
	v_add_f64 v[48:49], v[52:53], v[48:49]
	v_fma_f64 v[246:247], v[106:107], s[28:29], -v[140:141]
	v_fma_f64 v[236:237], v[106:107], s[12:13], v[154:155]
	buffer_store_dword v41, off, s[48:51], 0 offset:4 ; 4-byte Folded Spill
	buffer_store_dword v42, off, s[48:51], 0 offset:8 ; 4-byte Folded Spill
	v_fma_f64 v[41:42], v[84:85], s[28:29], v[134:135]
	v_fma_f64 v[234:235], v[106:107], s[12:13], -v[154:155]
	v_fma_f64 v[240:241], v[106:107], s[22:23], v[168:169]
	v_fma_f64 v[228:229], v[106:107], s[22:23], -v[168:169]
	v_add_f64 v[33:34], v[37:38], v[33:34]
	buffer_store_dword v41, off, s[48:51], 0 offset:12 ; 4-byte Folded Spill
	buffer_store_dword v42, off, s[48:51], 0 offset:16 ; 4-byte Folded Spill
	v_fma_f64 v[41:42], v[104:105], s[28:29], -v[138:139]
	v_add_f64 v[224:225], v[3:4], v[114:115]
	v_add_f64 v[154:155], v[3:4], v[116:117]
	;; [unrolled: 1-line block ×3, first 2 shown]
	v_fma_f64 v[57:58], v[72:73], s[22:23], -v[136:137]
	buffer_store_dword v41, off, s[48:51], 0 offset:268 ; 4-byte Folded Spill
	buffer_store_dword v42, off, s[48:51], 0 offset:272 ; 4-byte Folded Spill
	v_fma_f64 v[41:42], v[106:107], s[28:29], v[140:141]
	v_fma_f64 v[140:141], v[72:73], s[22:23], v[136:137]
	v_mul_f64 v[136:137], v[76:77], s[40:41]
	v_mul_f64 v[6:7], v[76:77], s[10:11]
	;; [unrolled: 1-line block ×3, first 2 shown]
	buffer_store_dword v41, off, s[48:51], 0 offset:276 ; 4-byte Folded Spill
	buffer_store_dword v42, off, s[48:51], 0 offset:280 ; 4-byte Folded Spill
	v_fma_f64 v[41:42], v[90:91], s[12:13], -v[142:143]
	v_mul_f64 v[96:97], v[96:97], s[36:37]
	v_mul_f64 v[98:99], v[98:99], s[8:9]
	;; [unrolled: 1-line block ×3, first 2 shown]
	v_fma_f64 v[248:249], v[104:105], s[28:29], v[138:139]
	buffer_store_dword v41, off, s[48:51], 0 offset:172 ; 4-byte Folded Spill
	buffer_store_dword v42, off, s[48:51], 0 offset:176 ; 4-byte Folded Spill
	v_fma_f64 v[41:42], v[92:93], s[12:13], v[144:145]
	v_add_f64 v[39:40], v[48:49], v[39:40]
	v_fma_f64 v[250:251], v[104:105], s[26:27], -v[180:181]
	v_fma_f64 v[220:221], v[106:107], s[26:27], v[182:183]
	v_fma_f64 v[244:245], v[90:91], s[30:31], -v[184:185]
	buffer_store_dword v41, off, s[48:51], 0 offset:180 ; 4-byte Folded Spill
	buffer_store_dword v42, off, s[48:51], 0 offset:184 ; 4-byte Folded Spill
	v_fma_f64 v[41:42], v[80:81], s[22:23], -v[146:147]
	v_fma_f64 v[218:219], v[92:93], s[30:31], v[186:187]
	v_add_f64 v[213:214], v[33:34], v[29:30]
	v_fma_f64 v[114:115], v[84:85], s[30:31], -v[86:87]
	v_fma_f64 v[116:117], v[84:85], s[28:29], -v[134:135]
	buffer_store_dword v41, off, s[48:51], 0 offset:28 ; 4-byte Folded Spill
	buffer_store_dword v42, off, s[48:51], 0 offset:32 ; 4-byte Folded Spill
	v_fma_f64 v[41:42], v[84:85], s[22:23], v[148:149]
	v_fma_f64 v[134:135], v[72:73], s[26:27], -v[150:151]
	v_fma_f64 v[150:151], v[72:73], s[26:27], v[150:151]
	v_fma_f64 v[138:139], v[72:73], s[14:15], -v[192:193]
	v_fma_f64 v[192:193], v[72:73], s[14:15], v[192:193]
	buffer_store_dword v41, off, s[48:51], 0 offset:44 ; 4-byte Folded Spill
	buffer_store_dword v42, off, s[48:51], 0 offset:48 ; 4-byte Folded Spill
	v_fma_f64 v[41:42], v[90:91], s[12:13], v[142:143]
	v_fma_f64 v[142:143], v[72:73], s[28:29], -v[78:79]
	v_fma_f64 v[45:46], v[74:75], s[26:27], v[136:137]
	v_fma_f64 v[136:137], v[74:75], s[26:27], -v[136:137]
	v_add_f64 v[35:36], v[39:40], v[35:36]
	buffer_store_dword v41, off, s[48:51], 0 offset:188 ; 4-byte Folded Spill
	buffer_store_dword v42, off, s[48:51], 0 offset:192 ; 4-byte Folded Spill
	v_fma_f64 v[41:42], v[92:93], s[12:13], -v[144:145]
	v_fma_f64 v[144:145], v[80:81], s[30:31], -v[88:89]
	v_add_f64 v[154:155], v[246:247], v[154:155]
	v_add_f64 v[216:217], v[35:36], v[31:32]
	;; [unrolled: 1-line block ×3, first 2 shown]
	buffer_store_dword v41, off, s[48:51], 0 offset:196 ; 4-byte Folded Spill
	buffer_store_dword v42, off, s[48:51], 0 offset:200 ; 4-byte Folded Spill
	v_fma_f64 v[41:42], v[80:81], s[22:23], v[146:147]
	v_fma_f64 v[146:147], v[72:73], s[28:29], v[78:79]
	v_add_f64 v[27:28], v[216:217], v[27:28]
	v_add_f64 v[21:22], v[25:26], v[21:22]
	;; [unrolled: 1-line block ×3, first 2 shown]
	buffer_store_dword v41, off, s[48:51], 0 offset:60 ; 4-byte Folded Spill
	buffer_store_dword v42, off, s[48:51], 0 offset:64 ; 4-byte Folded Spill
	v_fma_f64 v[41:42], v[84:85], s[22:23], -v[148:149]
	v_add_f64 v[148:149], v[1:2], v[112:113]
	v_add_f64 v[23:24], v[27:28], v[23:24]
	;; [unrolled: 1-line block ×4, first 2 shown]
	buffer_store_dword v41, off, s[48:51], 0 offset:76 ; 4-byte Folded Spill
	buffer_store_dword v42, off, s[48:51], 0 offset:80 ; 4-byte Folded Spill
	v_fma_f64 v[41:42], v[90:91], s[28:29], -v[156:157]
	v_add_f64 v[23:24], v[23:24], v[19:20]
	buffer_store_dword v41, off, s[48:51], 0 offset:204 ; 4-byte Folded Spill
	buffer_store_dword v42, off, s[48:51], 0 offset:208 ; 4-byte Folded Spill
	v_fma_f64 v[41:42], v[92:93], s[28:29], v[158:159]
	buffer_store_dword v41, off, s[48:51], 0 offset:212 ; 4-byte Folded Spill
	buffer_store_dword v42, off, s[48:51], 0 offset:216 ; 4-byte Folded Spill
	v_fma_f64 v[41:42], v[80:81], s[14:15], -v[160:161]
	buffer_store_dword v41, off, s[48:51], 0 offset:84 ; 4-byte Folded Spill
	buffer_store_dword v42, off, s[48:51], 0 offset:88 ; 4-byte Folded Spill
	v_fma_f64 v[41:42], v[84:85], s[14:15], v[162:163]
	buffer_store_dword v41, off, s[48:51], 0 offset:100 ; 4-byte Folded Spill
	buffer_store_dword v42, off, s[48:51], 0 offset:104 ; 4-byte Folded Spill
	v_fma_f64 v[41:42], v[90:91], s[28:29], v[156:157]
	v_add_f64 v[156:157], v[3:4], v[118:119]
	v_fma_f64 v[118:119], v[80:81], s[28:29], v[132:133]
	v_fma_f64 v[132:133], v[84:85], s[30:31], v[86:87]
	buffer_store_dword v41, off, s[48:51], 0 offset:220 ; 4-byte Folded Spill
	buffer_store_dword v42, off, s[48:51], 0 offset:224 ; 4-byte Folded Spill
	v_fma_f64 v[41:42], v[92:93], s[28:29], -v[158:159]
	v_add_f64 v[158:159], v[3:4], v[120:121]
	v_fma_f64 v[120:121], v[80:81], s[30:31], v[88:89]
	v_add_f64 v[156:157], v[234:235], v[156:157]
	buffer_store_dword v41, off, s[48:51], 0 offset:228 ; 4-byte Folded Spill
	buffer_store_dword v42, off, s[48:51], 0 offset:232 ; 4-byte Folded Spill
	v_fma_f64 v[41:42], v[80:81], s[14:15], v[160:161]
	v_add_f64 v[160:161], v[3:4], v[122:123]
	v_fma_f64 v[122:123], v[104:105], s[26:27], v[180:181]
	v_fma_f64 v[180:181], v[106:107], s[26:27], -v[182:183]
	v_fma_f64 v[182:183], v[90:91], s[30:31], v[184:185]
	buffer_store_dword v41, off, s[48:51], 0 offset:108 ; 4-byte Folded Spill
	buffer_store_dword v42, off, s[48:51], 0 offset:112 ; 4-byte Folded Spill
	v_fma_f64 v[41:42], v[84:85], s[14:15], -v[162:163]
	v_add_f64 v[162:163], v[1:2], v[60:61]
	v_fma_f64 v[184:185], v[92:93], s[30:31], -v[186:187]
	v_fma_f64 v[186:187], v[80:81], s[12:13], v[188:189]
	v_add_f64 v[122:123], v[122:123], v[148:149]
	buffer_store_dword v41, off, s[48:51], 0 offset:116 ; 4-byte Folded Spill
	buffer_store_dword v42, off, s[48:51], 0 offset:120 ; 4-byte Folded Spill
	v_fma_f64 v[41:42], v[90:91], s[14:15], -v[170:171]
	v_add_f64 v[162:163], v[248:249], v[162:163]
	v_add_f64 v[148:149], v[180:181], v[160:161]
	;; [unrolled: 1-line block ×4, first 2 shown]
	buffer_store_dword v41, off, s[48:51], 0 offset:252 ; 4-byte Folded Spill
	buffer_store_dword v42, off, s[48:51], 0 offset:256 ; 4-byte Folded Spill
	v_fma_f64 v[41:42], v[92:93], s[14:15], v[172:173]
	v_add_f64 v[148:149], v[184:185], v[148:149]
	buffer_store_dword v41, off, s[48:51], 0 offset:260 ; 4-byte Folded Spill
	buffer_store_dword v42, off, s[48:51], 0 offset:264 ; 4-byte Folded Spill
	v_fma_f64 v[41:42], v[80:81], s[26:27], -v[174:175]
	v_add_f64 v[122:123], v[186:187], v[122:123]
	buffer_store_dword v41, off, s[48:51], 0 offset:132 ; 4-byte Folded Spill
	buffer_store_dword v42, off, s[48:51], 0 offset:136 ; 4-byte Folded Spill
	v_fma_f64 v[41:42], v[84:85], s[26:27], v[176:177]
	buffer_store_dword v41, off, s[48:51], 0 offset:140 ; 4-byte Folded Spill
	buffer_store_dword v42, off, s[48:51], 0 offset:144 ; 4-byte Folded Spill
	v_fma_f64 v[41:42], v[90:91], s[14:15], v[170:171]
	v_add_f64 v[170:171], v[1:2], v[108:109]
	buffer_store_dword v41, off, s[48:51], 0 offset:284 ; 4-byte Folded Spill
	buffer_store_dword v42, off, s[48:51], 0 offset:288 ; 4-byte Folded Spill
	v_fma_f64 v[41:42], v[92:93], s[14:15], -v[172:173]
	v_add_f64 v[172:173], v[1:2], v[110:111]
	v_add_f64 v[170:171], v[232:233], v[170:171]
	buffer_store_dword v41, off, s[48:51], 0 offset:292 ; 4-byte Folded Spill
	buffer_store_dword v42, off, s[48:51], 0 offset:296 ; 4-byte Folded Spill
	v_fma_f64 v[41:42], v[80:81], s[26:27], v[174:175]
	v_add_f64 v[174:175], v[3:4], v[70:71]
	v_mul_f64 v[4:5], v[76:77], s[36:37]
	v_add_f64 v[172:173], v[226:227], v[172:173]
	buffer_store_dword v41, off, s[48:51], 0 offset:156 ; 4-byte Folded Spill
	buffer_store_dword v42, off, s[48:51], 0 offset:160 ; 4-byte Folded Spill
	v_fma_f64 v[41:42], v[84:85], s[26:27], -v[176:177]
	v_add_f64 v[176:177], v[1:2], v[54:55]
	v_fma_f64 v[0:1], v[80:81], s[12:13], -v[188:189]
	v_mul_f64 v[2:3], v[76:77], s[46:47]
	v_fma_f64 v[188:189], v[84:85], s[12:13], -v[190:191]
	buffer_store_dword v41, off, s[48:51], 0 offset:164 ; 4-byte Folded Spill
	buffer_store_dword v42, off, s[48:51], 0 offset:168 ; 4-byte Folded Spill
	;; [unrolled: 1-line block ×4, first 2 shown]
	v_mul_f64 v[0:1], v[76:77], s[24:25]
	v_mul_f64 v[76:77], v[76:77], s[8:9]
	v_fma_f64 v[54:55], v[74:75], s[12:13], v[2:3]
	v_fma_f64 v[59:60], v[74:75], s[12:13], -v[2:3]
	v_fma_f64 v[72:73], v[74:75], s[14:15], v[4:5]
	v_fma_f64 v[78:79], v[74:75], s[14:15], -v[4:5]
	;; [unrolled: 2-line block ×3, first 2 shown]
	v_mul_f64 v[2:3], v[68:69], s[44:45]
	v_mul_f64 v[4:5], v[68:69], s[10:11]
	;; [unrolled: 1-line block ×3, first 2 shown]
	v_fma_f64 v[190:191], v[104:105], s[14:15], -v[94:95]
	v_fma_f64 v[94:95], v[104:105], s[14:15], v[94:95]
	v_fma_f64 v[104:105], v[104:105], s[30:31], v[124:125]
	;; [unrolled: 1-line block ×3, first 2 shown]
	v_fma_f64 v[96:97], v[106:107], s[14:15], -v[96:97]
	v_fma_f64 v[106:107], v[106:107], s[30:31], -v[126:127]
	;; [unrolled: 1-line block ×3, first 2 shown]
	v_fma_f64 v[98:99], v[90:91], s[22:23], v[98:99]
	v_fma_f64 v[90:91], v[90:91], s[26:27], v[128:129]
	;; [unrolled: 1-line block ×3, first 2 shown]
	v_fma_f64 v[102:103], v[92:93], s[22:23], -v[102:103]
	v_fma_f64 v[50:51], v[74:75], s[30:31], v[0:1]
	v_fma_f64 v[52:53], v[74:75], s[30:31], -v[0:1]
	v_fma_f64 v[29:30], v[74:75], s[22:23], v[76:77]
	v_fma_f64 v[74:75], v[74:75], s[22:23], -v[76:77]
	v_mul_f64 v[76:77], v[68:69], s[36:37]
	v_mul_f64 v[0:1], v[68:69], s[8:9]
	;; [unrolled: 1-line block ×3, first 2 shown]
	v_fma_f64 v[92:93], v[92:93], s[26:27], -v[130:131]
	v_fma_f64 v[88:89], v[62:63], s[30:31], -v[2:3]
	v_fma_f64 v[100:101], v[62:63], s[30:31], v[2:3]
	v_fma_f64 v[108:109], v[62:63], s[28:29], -v[4:5]
	v_fma_f64 v[110:111], v[62:63], s[28:29], v[4:5]
	;; [unrolled: 2-line block ×3, first 2 shown]
	v_mul_f64 v[4:5], v[66:67], s[36:37]
	v_mul_f64 v[2:3], v[66:67], s[10:11]
	;; [unrolled: 1-line block ×3, first 2 shown]
	v_add_f64 v[94:95], v[94:95], v[166:167]
	v_add_f64 v[96:97], v[96:97], v[168:169]
	;; [unrolled: 1-line block ×7, first 2 shown]
	v_fma_f64 v[70:71], v[62:63], s[14:15], -v[76:77]
	v_fma_f64 v[76:77], v[62:63], s[14:15], v[76:77]
	v_fma_f64 v[82:83], v[62:63], s[22:23], -v[0:1]
	v_fma_f64 v[86:87], v[62:63], s[22:23], v[0:1]
	;; [unrolled: 2-line block ×3, first 2 shown]
	v_mul_f64 v[68:69], v[66:67], s[8:9]
	v_mul_f64 v[0:1], v[66:67], s[44:45]
	;; [unrolled: 1-line block ×3, first 2 shown]
	v_fma_f64 v[31:32], v[64:65], s[14:15], v[4:5]
	v_fma_f64 v[33:34], v[64:65], s[14:15], -v[4:5]
	v_fma_f64 v[41:42], v[64:65], s[28:29], v[2:3]
	v_fma_f64 v[48:49], v[64:65], s[28:29], -v[2:3]
	;; [unrolled: 2-line block ×3, first 2 shown]
	s_clause 0x1
	buffer_load_dword v2, off, s[48:51], 0 offset:236
	buffer_load_dword v3, off, s[48:51], 0 offset:240
	v_add_f64 v[94:95], v[98:99], v[94:95]
	v_add_f64 v[96:97], v[102:103], v[96:97]
	;; [unrolled: 1-line block ×7, first 2 shown]
	v_fma_f64 v[35:36], v[64:65], s[22:23], v[68:69]
	v_fma_f64 v[68:69], v[64:65], s[22:23], -v[68:69]
	v_fma_f64 v[37:38], v[64:65], s[30:31], v[0:1]
	v_fma_f64 v[0:1], v[64:65], s[30:31], -v[0:1]
	;; [unrolled: 2-line block ×3, first 2 shown]
	s_clause 0x1
	buffer_load_dword v65, off, s[48:51], 0 offset:244
	buffer_load_dword v66, off, s[48:51], 0 offset:248
	v_add_f64 v[94:95], v[120:121], v[94:95]
	v_add_f64 v[96:97], v[114:115], v[96:97]
	v_add_f64 v[90:91], v[118:119], v[90:91]
	v_add_f64 v[92:93], v[116:117], v[92:93]
	v_add_f64 v[126:127], v[144:145], v[126:127]
	v_add_f64 v[124:125], v[132:133], v[124:125]
	v_add_f64 v[118:119], v[192:193], v[122:123]
	v_add_f64 v[48:49], v[48:49], v[78:79]
	v_add_f64 v[94:95], v[146:147], v[94:95]
	v_add_f64 v[84:85], v[84:85], v[96:97]
	v_add_f64 v[90:91], v[140:141], v[90:91]
	v_add_f64 v[74:75], v[74:75], v[92:93]
	v_add_f64 v[92:93], v[23:24], v[15:16]
	v_add_f64 v[120:121], v[142:143], v[126:127]
	v_add_f64 v[80:81], v[80:81], v[124:125]
	s_waitcnt vmcnt(2)
	v_add_f64 v[2:3], v[2:3], v[176:177]
	v_add_f64 v[176:177], v[238:239], v[194:195]
	;; [unrolled: 1-line block ×4, first 2 shown]
	s_waitcnt vmcnt(0)
	v_add_f64 v[65:66], v[65:66], v[174:175]
	s_clause 0x1
	buffer_load_dword v174, off, s[48:51], 0 offset:268
	buffer_load_dword v175, off, s[48:51], 0 offset:272
	s_waitcnt vmcnt(0)
	v_add_f64 v[152:153], v[174:175], v[152:153]
	s_clause 0x3
	buffer_load_dword v174, off, s[48:51], 0 offset:276
	buffer_load_dword v175, off, s[48:51], 0 offset:280
	;; [unrolled: 1-line block ×4, first 2 shown]
	s_waitcnt vmcnt(2)
	v_add_f64 v[174:175], v[174:175], v[202:203]
	s_waitcnt vmcnt(0)
	v_add_f64 v[2:3], v[166:167], v[2:3]
	s_clause 0x1
	buffer_load_dword v166, off, s[48:51], 0 offset:148
	buffer_load_dword v167, off, s[48:51], 0 offset:152
	v_add_f64 v[202:203], v[240:241], v[206:207]
	s_waitcnt vmcnt(0)
	v_add_f64 v[65:66], v[166:167], v[65:66]
	s_clause 0x1
	buffer_load_dword v166, off, s[48:51], 0 offset:172
	buffer_load_dword v167, off, s[48:51], 0 offset:176
	s_waitcnt vmcnt(0)
	v_add_f64 v[152:153], v[166:167], v[152:153]
	s_clause 0x3
	buffer_load_dword v166, off, s[48:51], 0 offset:180
	buffer_load_dword v167, off, s[48:51], 0 offset:184
	;; [unrolled: 1-line block ×4, first 2 shown]
	s_waitcnt vmcnt(2)
	v_add_f64 v[166:167], v[166:167], v[174:175]
	s_waitcnt vmcnt(0)
	v_add_f64 v[162:163], v[168:169], v[162:163]
	s_clause 0x1
	buffer_load_dword v168, off, s[48:51], 0 offset:196
	buffer_load_dword v169, off, s[48:51], 0 offset:200
	s_waitcnt vmcnt(0)
	v_add_f64 v[154:155], v[168:169], v[154:155]
	s_clause 0x3
	buffer_load_dword v168, off, s[48:51], 0 offset:204
	buffer_load_dword v169, off, s[48:51], 0 offset:208
	;; [unrolled: 1-line block ×4, first 2 shown]
	s_waitcnt vmcnt(2)
	v_add_f64 v[168:169], v[168:169], v[176:177]
	s_clause 0x1
	buffer_load_dword v176, off, s[48:51], 0 offset:220
	buffer_load_dword v177, off, s[48:51], 0 offset:224
	s_waitcnt vmcnt(2)
	v_add_f64 v[174:175], v[174:175], v[194:195]
	v_add_f64 v[194:195], v[218:219], v[204:205]
	s_waitcnt vmcnt(0)
	v_add_f64 v[170:171], v[176:177], v[170:171]
	s_clause 0x1
	buffer_load_dword v176, off, s[48:51], 0 offset:228
	buffer_load_dword v177, off, s[48:51], 0 offset:232
	s_waitcnt vmcnt(0)
	v_add_f64 v[156:157], v[176:177], v[156:157]
	s_clause 0x5
	buffer_load_dword v176, off, s[48:51], 0 offset:252
	buffer_load_dword v177, off, s[48:51], 0 offset:256
	;; [unrolled: 1-line block ×6, first 2 shown]
	s_waitcnt vmcnt(4)
	v_add_f64 v[176:177], v[176:177], v[196:197]
	s_waitcnt vmcnt(2)
	v_add_f64 v[180:181], v[180:181], v[202:203]
	;; [unrolled: 2-line block ×3, first 2 shown]
	s_clause 0x3
	buffer_load_dword v190, off, s[48:51], 0 offset:292
	buffer_load_dword v191, off, s[48:51], 0 offset:296
	buffer_load_dword v98, off, s[48:51], 0 offset:4
	buffer_load_dword v99, off, s[48:51], 0 offset:8
	s_waitcnt vmcnt(2)
	v_add_f64 v[158:159], v[190:191], v[158:159]
	s_waitcnt vmcnt(0)
	v_add_f64 v[2:3], v[98:99], v[2:3]
	s_clause 0x1
	buffer_load_dword v98, off, s[48:51], 0 offset:12
	buffer_load_dword v99, off, s[48:51], 0 offset:16
	v_add_f64 v[190:191], v[244:245], v[198:199]
	v_add_f64 v[2:3], v[57:58], v[2:3]
	;; [unrolled: 1-line block ×3, first 2 shown]
	s_waitcnt vmcnt(0)
	v_add_f64 v[65:66], v[98:99], v[65:66]
	s_clause 0x9
	buffer_load_dword v98, off, s[48:51], 0 offset:28
	buffer_load_dword v99, off, s[48:51], 0 offset:32
	;; [unrolled: 1-line block ×10, first 2 shown]
	v_add_f64 v[29:30], v[29:30], v[65:66]
	v_add_f64 v[4:5], v[4:5], v[29:30]
	s_waitcnt vmcnt(8)
	v_add_f64 v[98:99], v[98:99], v[152:153]
	s_clause 0x1
	buffer_load_dword v152, off, s[48:51], 0 offset:100
	buffer_load_dword v153, off, s[48:51], 0 offset:104
	s_waitcnt vmcnt(6)
	v_add_f64 v[104:105], v[104:105], v[162:163]
	s_waitcnt vmcnt(4)
	v_add_f64 v[106:107], v[106:107], v[154:155]
	s_clause 0x3
	buffer_load_dword v154, off, s[48:51], 0 offset:108
	buffer_load_dword v155, off, s[48:51], 0 offset:112
	;; [unrolled: 1-line block ×4, first 2 shown]
	v_add_f64 v[102:103], v[102:103], v[166:167]
	s_waitcnt vmcnt(6)
	v_add_f64 v[128:129], v[128:129], v[168:169]
	v_add_f64 v[166:167], v[242:243], v[194:195]
	;; [unrolled: 1-line block ×19, first 2 shown]
	s_waitcnt vmcnt(4)
	v_add_f64 v[152:153], v[152:153], v[174:175]
	s_waitcnt vmcnt(2)
	v_add_f64 v[154:155], v[154:155], v[170:171]
	;; [unrolled: 2-line block ×3, first 2 shown]
	s_clause 0x7
	buffer_load_dword v160, off, s[48:51], 0 offset:132
	buffer_load_dword v161, off, s[48:51], 0 offset:136
	;; [unrolled: 1-line block ×8, first 2 shown]
	v_add_f64 v[50:51], v[50:51], v[152:153]
	v_add_f64 v[104:105], v[164:165], v[154:155]
	;; [unrolled: 1-line block ×5, first 2 shown]
	s_waitcnt vmcnt(6)
	v_add_f64 v[160:161], v[160:161], v[176:177]
	s_waitcnt vmcnt(4)
	v_add_f64 v[162:163], v[162:163], v[180:181]
	;; [unrolled: 2-line block ×4, first 2 shown]
	s_clause 0x1
	buffer_load_dword v158, off, s[48:51], 0 offset:300
	buffer_load_dword v159, off, s[48:51], 0 offset:304
	v_add_f64 v[106:107], v[254:255], v[160:161]
	v_add_f64 v[54:55], v[54:55], v[162:163]
	;; [unrolled: 1-line block ×11, first 2 shown]
	buffer_load_dword v0, off, s[48:51], 0  ; 4-byte Folded Reload
	v_add_f64 v[33:34], v[100:101], v[114:115]
	v_add_f64 v[58:59], v[61:62], v[90:91]
	;; [unrolled: 1-line block ×3, first 2 shown]
	v_mad_u32_u24 v1, 0x9c0, v212, 0
	s_waitcnt vmcnt(1)
	v_add_f64 v[158:159], v[158:159], v[190:191]
	v_add_f64 v[116:117], v[138:139], v[158:159]
	;; [unrolled: 1-line block ×3, first 2 shown]
	s_waitcnt vmcnt(0)
	v_mov_b32_e32 v255, v0
	v_lshl_add_u32 v0, v0, 4, v1
	ds_write_b128 v0, v[2:5] offset:192
	ds_write_b128 v0, v[17:20] offset:384
	;; [unrolled: 1-line block ×12, first 2 shown]
	ds_write_b128 v0, v[6:9]
	s_waitcnt lgkmcnt(0)
	s_waitcnt_vscnt null, 0x0
	s_barrier
	buffer_gl0_inv
	s_and_saveexec_b32 s2, vcc_lo
	s_cbranch_execz .LBB0_17
; %bb.16:
	v_mul_hi_u32 v0, 0x13b13b14, v212
	v_mul_lo_u32 v2, v215, -13
	s_add_i32 s2, 0, 0x7ec0
	v_mul_u32_u24_e32 v0, 13, v0
	v_sub_nc_u32_e32 v0, v212, v0
	v_mul_lo_u32 v3, v0, v215
	buffer_store_dword v0, off, s[48:51], 0 offset:4 ; 4-byte Folded Spill
	v_add_nc_u32_e32 v0, 0x9c, v0
	v_mul_lo_u32 v4, v0, v215
	v_lshrrev_b32_e32 v6, 2, v3
	v_and_b32_e32 v5, 63, v3
	v_lshrrev_b32_e32 v0, 8, v3
	v_and_b32_e32 v3, 0x3f0, v6
	v_lshl_add_u32 v7, v5, 4, 0
	v_add_nc_u32_e32 v5, v4, v2
	v_lshrrev_b32_e32 v6, 2, v4
	v_and_b32_e32 v8, 63, v4
	v_lshrrev_b32_e32 v4, 8, v4
	v_add_nc_u32_e32 v3, s2, v3
	v_lshrrev_b32_e32 v11, 2, v5
	v_and_b32_e32 v12, 0x3f0, v6
	v_and_b32_e32 v13, 63, v5
	v_lshl_add_u32 v14, v8, 4, 0
	v_add_nc_u32_e32 v19, v5, v2
	v_and_b32_e32 v15, 0x3f0, v4
	v_lshrrev_b32_e32 v16, 8, v5
	ds_read_b128 v[3:6], v3 offset:1024
	ds_read_b128 v[7:10], v7 offset:32448
	v_and_b32_e32 v0, 0x3f0, v0
	v_and_b32_e32 v17, 0x3f0, v11
	v_add_nc_u32_e32 v18, s2, v12
	v_lshl_add_u32 v20, v13, 4, 0
	v_lshrrev_b32_e32 v21, 2, v19
	v_add_nc_u32_e32 v0, s2, v0
	v_and_b32_e32 v23, 63, v19
	v_add_nc_u32_e32 v24, s2, v17
	ds_read_b128 v[11:14], v14 offset:32448
	v_add_nc_u32_e32 v37, v19, v2
	ds_read_b128 v[25:28], v0 offset:2048
	v_add_nc_u32_e32 v33, s2, v15
	v_and_b32_e32 v38, 0x3f0, v16
	ds_read_b128 v[15:18], v18 offset:1024
	v_lshrrev_b32_e32 v39, 8, v19
	v_and_b32_e32 v0, 0x3f0, v21
	ds_read_b128 v[19:22], v20 offset:32448
	ds_read_b128 v[29:32], v24 offset:1024
	v_lshl_add_u32 v40, v23, 4, 0
	v_lshrrev_b32_e32 v41, 2, v37
	s_waitcnt lgkmcnt(5)
	v_mul_f64 v[23:24], v[9:10], v[5:6]
	v_mul_f64 v[5:6], v[7:8], v[5:6]
	v_add_nc_u32_e32 v42, s2, v38
	v_add_nc_u32_e32 v0, s2, v0
	v_and_b32_e32 v43, 63, v37
	v_add_nc_u32_e32 v45, v37, v2
	v_and_b32_e32 v58, 0x3f0, v39
	v_lshrrev_b32_e32 v59, 8, v37
	ds_read_b128 v[37:40], v40 offset:32448
	ds_read_b128 v[103:106], v42 offset:2048
	v_and_b32_e32 v44, 0x3f0, v41
	ds_read_b128 v[33:36], v33 offset:2048
	ds_read_b128 v[46:49], v0 offset:1024
	v_lshl_add_u32 v50, v43, 4, 0
	s_waitcnt lgkmcnt(6)
	v_mul_f64 v[41:42], v[13:14], v[17:18]
	v_mul_f64 v[17:18], v[11:12], v[17:18]
	v_add_nc_u32_e32 v0, s2, v44
	v_lshrrev_b32_e32 v60, 2, v45
	s_waitcnt lgkmcnt(4)
	v_mul_f64 v[43:44], v[21:22], v[31:32]
	ds_read_b128 v[50:53], v50 offset:32448
	ds_read_b128 v[54:57], v0 offset:1024
	v_mul_f64 v[31:32], v[19:20], v[31:32]
	v_fma_f64 v[7:8], v[7:8], v[3:4], -v[23:24]
	v_fma_f64 v[3:4], v[9:10], v[3:4], v[5:6]
	v_and_b32_e32 v0, 0x3f0, v59
	v_add_nc_u32_e32 v5, s2, v58
	buffer_store_dword v7, off, s[48:51], 0 offset:116 ; 4-byte Folded Spill
	buffer_store_dword v8, off, s[48:51], 0 offset:120 ; 4-byte Folded Spill
	;; [unrolled: 1-line block ×4, first 2 shown]
	v_and_b32_e32 v3, 63, v45
	v_and_b32_e32 v4, 0x3f0, v60
	v_add_nc_u32_e32 v0, s2, v0
	v_fma_f64 v[23:24], v[11:12], v[15:16], -v[41:42]
	v_fma_f64 v[41:42], v[13:14], v[15:16], v[17:18]
	v_lshl_add_u32 v61, v3, 4, 0
	v_add_nc_u32_e32 v58, s2, v4
	ds_read_b128 v[3:6], v5 offset:2048
	ds_read_b128 v[7:10], v0 offset:2048
	v_add_nc_u32_e32 v60, v45, v2
	v_lshrrev_b32_e32 v0, 8, v45
	ds_read_b128 v[15:18], v61 offset:32448
	ds_read_b128 v[11:14], v58 offset:1024
	s_waitcnt lgkmcnt(6)
	v_mul_f64 v[58:59], v[39:40], v[48:49]
	v_mul_f64 v[48:49], v[37:38], v[48:49]
	v_fma_f64 v[93:94], v[19:20], v[29:30], -v[43:44]
	v_lshrrev_b32_e32 v19, 8, v60
	v_fma_f64 v[99:100], v[21:22], v[29:30], v[31:32]
	s_waitcnt lgkmcnt(4)
	v_mul_f64 v[29:30], v[52:53], v[56:57]
	v_and_b32_e32 v0, 0x3f0, v0
	v_mul_f64 v[31:32], v[50:51], v[56:57]
	v_and_b32_e32 v19, 0x3f0, v19
	v_add_nc_u32_e32 v0, s2, v0
	v_add_nc_u32_e32 v43, s2, v19
	v_fma_f64 v[139:140], v[37:38], v[46:47], -v[58:59]
	v_fma_f64 v[141:142], v[39:40], v[46:47], v[48:49]
	ds_read_b128 v[19:22], v0 offset:2048
	ds_read_b128 v[37:40], v43 offset:2048
	s_waitcnt lgkmcnt(2)
	v_mul_f64 v[43:44], v[17:18], v[13:14]
	v_mul_f64 v[13:14], v[15:16], v[13:14]
	v_lshrrev_b32_e32 v0, 2, v60
	v_fma_f64 v[143:144], v[50:51], v[54:55], -v[29:30]
	v_and_b32_e32 v29, 63, v60
	v_fma_f64 v[145:146], v[52:53], v[54:55], v[31:32]
	v_and_b32_e32 v0, 0x3f0, v0
	v_lshl_add_u32 v29, v29, 4, 0
	v_add_nc_u32_e32 v0, s2, v0
	v_fma_f64 v[147:148], v[15:16], v[11:12], -v[43:44]
	v_fma_f64 v[149:150], v[17:18], v[11:12], v[13:14]
	ds_read_b128 v[11:14], v29 offset:32448
	ds_read_b128 v[15:18], v0 offset:1024
	v_add_nc_u32_e32 v0, v60, v2
	v_lshrrev_b32_e32 v31, 2, v0
	v_and_b32_e32 v32, 63, v0
	v_and_b32_e32 v31, 0x3f0, v31
	v_lshl_add_u32 v32, v32, 4, 0
	v_add_nc_u32_e32 v31, s2, v31
	s_waitcnt lgkmcnt(0)
	v_mul_f64 v[29:30], v[13:14], v[17:18]
	v_mul_f64 v[17:18], v[11:12], v[17:18]
	v_fma_f64 v[151:152], v[11:12], v[15:16], -v[29:30]
	v_fma_f64 v[153:154], v[13:14], v[15:16], v[17:18]
	ds_read_b128 v[11:14], v31 offset:1024
	ds_read_b128 v[15:18], v32 offset:32448
	v_add_nc_u32_e32 v31, v0, v2
	v_lshrrev_b32_e32 v0, 8, v0
	v_lshrrev_b32_e32 v29, 8, v31
	v_and_b32_e32 v0, 0x3f0, v0
	v_and_b32_e32 v29, 0x3f0, v29
	v_add_nc_u32_e32 v0, s2, v0
	v_add_nc_u32_e32 v29, s2, v29
	ds_read_b128 v[107:110], v0 offset:2048
	ds_read_b128 v[111:114], v29 offset:2048
	s_waitcnt lgkmcnt(2)
	v_mul_f64 v[29:30], v[17:18], v[13:14]
	v_mul_f64 v[13:14], v[15:16], v[13:14]
	v_lshrrev_b32_e32 v0, 2, v31
	v_and_b32_e32 v0, 0x3f0, v0
	v_add_nc_u32_e32 v0, s2, v0
	v_fma_f64 v[155:156], v[15:16], v[11:12], -v[29:30]
	v_fma_f64 v[157:158], v[17:18], v[11:12], v[13:14]
	v_and_b32_e32 v11, 63, v31
	v_lshl_add_u32 v11, v11, 4, 0
	ds_read_b128 v[11:14], v11 offset:32448
	ds_read_b128 v[15:18], v0 offset:1024
	v_add_nc_u32_e32 v0, v31, v2
	v_add_nc_u32_e32 v31, v0, v2
	s_waitcnt lgkmcnt(0)
	v_mul_f64 v[29:30], v[13:14], v[17:18]
	v_fma_f64 v[159:160], v[11:12], v[15:16], -v[29:30]
	v_mul_f64 v[11:12], v[11:12], v[17:18]
	v_fma_f64 v[161:162], v[13:14], v[15:16], v[11:12]
	v_lshrrev_b32_e32 v11, 2, v0
	v_lshrrev_b32_e32 v12, 8, v0
	;; [unrolled: 1-line block ×3, first 2 shown]
	v_and_b32_e32 v0, 63, v0
	v_and_b32_e32 v11, 0x3f0, v11
	;; [unrolled: 1-line block ×4, first 2 shown]
	v_lshl_add_u32 v0, v0, 4, 0
	v_add_nc_u32_e32 v11, s2, v11
	v_add_nc_u32_e32 v29, s2, v12
	;; [unrolled: 1-line block ×3, first 2 shown]
	ds_read_b128 v[11:14], v11 offset:1024
	ds_read_b128 v[15:18], v0 offset:32448
	;; [unrolled: 1-line block ×4, first 2 shown]
	v_lshrrev_b32_e32 v0, 2, v31
	v_and_b32_e32 v0, 0x3f0, v0
	v_add_nc_u32_e32 v0, s2, v0
	s_waitcnt lgkmcnt(2)
	v_mul_f64 v[29:30], v[17:18], v[13:14]
	v_mul_f64 v[13:14], v[15:16], v[13:14]
	v_fma_f64 v[163:164], v[15:16], v[11:12], -v[29:30]
	v_fma_f64 v[165:166], v[17:18], v[11:12], v[13:14]
	v_and_b32_e32 v11, 63, v31
	v_lshl_add_u32 v11, v11, 4, 0
	ds_read_b128 v[11:14], v11 offset:32448
	ds_read_b128 v[15:18], v0 offset:1024
	v_add_nc_u32_e32 v0, v31, v2
	v_add_nc_u32_e32 v2, v0, v2
	s_waitcnt lgkmcnt(0)
	v_mul_f64 v[29:30], v[13:14], v[17:18]
	v_fma_f64 v[167:168], v[11:12], v[15:16], -v[29:30]
	v_mul_f64 v[11:12], v[11:12], v[17:18]
	v_fma_f64 v[169:170], v[13:14], v[15:16], v[11:12]
	v_lshrrev_b32_e32 v11, 2, v0
	v_lshrrev_b32_e32 v12, 8, v0
	;; [unrolled: 1-line block ×3, first 2 shown]
	v_and_b32_e32 v0, 63, v0
	v_and_b32_e32 v11, 0x3f0, v11
	;; [unrolled: 1-line block ×4, first 2 shown]
	v_lshl_add_u32 v0, v0, 4, 0
	v_add_nc_u32_e32 v11, s2, v11
	v_add_nc_u32_e32 v29, s2, v12
	;; [unrolled: 1-line block ×3, first 2 shown]
	ds_read_b128 v[11:14], v11 offset:1024
	ds_read_b128 v[15:18], v0 offset:32448
	;; [unrolled: 1-line block ×4, first 2 shown]
	v_lshrrev_b32_e32 v0, 2, v2
	v_and_b32_e32 v2, 63, v2
	v_and_b32_e32 v0, 0x3f0, v0
	v_lshl_add_u32 v2, v2, 4, 0
	v_add_nc_u32_e32 v0, s2, v0
	s_waitcnt lgkmcnt(2)
	v_mul_f64 v[29:30], v[17:18], v[13:14]
	v_mul_f64 v[13:14], v[15:16], v[13:14]
	v_fma_f64 v[171:172], v[15:16], v[11:12], -v[29:30]
	v_fma_f64 v[173:174], v[17:18], v[11:12], v[13:14]
	ds_read_b128 v[11:14], v2 offset:32448
	ds_read_b128 v[15:18], v0 offset:1024
	v_mul_i32_i24_e32 v0, 0xfffff700, v212
	v_lshlrev_b32_e32 v2, 4, v255
	v_add3_u32 v2, v1, v0, v2
	buffer_load_dword v0, off, s[48:51], 0 offset:4 ; 4-byte Folded Reload
	s_waitcnt lgkmcnt(0)
	v_mul_f64 v[29:30], v[13:14], v[17:18]
	v_fma_f64 v[175:176], v[11:12], v[15:16], -v[29:30]
	v_mul_f64 v[11:12], v[11:12], v[17:18]
	v_fma_f64 v[177:178], v[13:14], v[15:16], v[11:12]
	s_waitcnt vmcnt(0)
	v_mul_u32_u24_e32 v0, 12, v0
	v_lshlrev_b32_e32 v43, 4, v0
	global_load_dwordx4 v[11:14], v43, s[20:21] offset:80
	ds_read_b128 v[15:18], v2 offset:14976
	ds_read_b128 v[29:32], v2 offset:17472
	global_load_dwordx4 v[51:54], v43, s[20:21] offset:64
	s_waitcnt vmcnt(1) lgkmcnt(1)
	v_mul_f64 v[0:1], v[15:16], v[13:14]
	v_fma_f64 v[87:88], v[17:18], v[11:12], v[0:1]
	v_mul_f64 v[0:1], v[17:18], v[13:14]
	v_fma_f64 v[183:184], v[15:16], v[11:12], -v[0:1]
	s_clause 0x1
	global_load_dwordx4 v[11:14], v43, s[20:21] offset:96
	global_load_dwordx4 v[15:18], v43, s[20:21] offset:112
	s_waitcnt vmcnt(1) lgkmcnt(0)
	v_mul_f64 v[0:1], v[29:30], v[13:14]
	v_fma_f64 v[189:190], v[31:32], v[11:12], v[0:1]
	v_mul_f64 v[0:1], v[31:32], v[13:14]
	v_fma_f64 v[49:50], v[29:30], v[11:12], -v[0:1]
	ds_read_b128 v[11:14], v2 offset:12480
	ds_read_b128 v[29:32], v2 offset:9984
	s_waitcnt lgkmcnt(1)
	v_mul_f64 v[0:1], v[11:12], v[53:54]
	v_add_f64 v[181:182], v[183:184], v[49:50]
	v_add_f64 v[187:188], v[183:184], -v[49:50]
	v_fma_f64 v[59:60], v[13:14], v[51:52], v[0:1]
	v_mul_f64 v[0:1], v[13:14], v[53:54]
	v_fma_f64 v[65:66], v[11:12], v[51:52], -v[0:1]
	ds_read_b128 v[11:14], v2 offset:19968
	ds_read_b128 v[61:64], v2 offset:22464
	s_waitcnt vmcnt(0) lgkmcnt(1)
	v_mul_f64 v[0:1], v[11:12], v[17:18]
	v_fma_f64 v[51:52], v[13:14], v[15:16], v[0:1]
	v_mul_f64 v[0:1], v[13:14], v[17:18]
	v_fma_f64 v[53:54], v[11:12], v[15:16], -v[0:1]
	s_clause 0x1
	global_load_dwordx4 v[11:14], v43, s[20:21] offset:48
	global_load_dwordx4 v[15:18], v43, s[20:21] offset:32
	s_waitcnt vmcnt(1)
	v_mul_f64 v[0:1], v[29:30], v[13:14]
	v_fma_f64 v[71:72], v[31:32], v[11:12], v[0:1]
	v_mul_f64 v[0:1], v[31:32], v[13:14]
	v_fma_f64 v[75:76], v[29:30], v[11:12], -v[0:1]
	s_clause 0x1
	global_load_dwordx4 v[11:14], v43, s[20:21] offset:128
	global_load_dwordx4 v[131:134], v43, s[20:21] offset:144
	s_waitcnt vmcnt(1) lgkmcnt(0)
	v_mul_f64 v[0:1], v[61:62], v[13:14]
	v_fma_f64 v[55:56], v[63:64], v[11:12], v[0:1]
	v_mul_f64 v[0:1], v[63:64], v[13:14]
	v_fma_f64 v[61:62], v[61:62], v[11:12], -v[0:1]
	ds_read_b128 v[11:14], v2 offset:7488
	ds_read_b128 v[29:32], v2 offset:4992
	s_waitcnt lgkmcnt(1)
	v_mul_f64 v[0:1], v[11:12], v[17:18]
	v_fma_f64 v[81:82], v[13:14], v[15:16], v[0:1]
	v_mul_f64 v[0:1], v[13:14], v[17:18]
	v_fma_f64 v[83:84], v[11:12], v[15:16], -v[0:1]
	s_clause 0x1
	global_load_dwordx4 v[11:14], v43, s[20:21] offset:16
	global_load_dwordx4 v[15:18], v43, s[20:21]
	s_waitcnt vmcnt(1) lgkmcnt(0)
	v_mul_f64 v[0:1], v[29:30], v[13:14]
	v_fma_f64 v[85:86], v[31:32], v[11:12], v[0:1]
	v_mul_f64 v[0:1], v[31:32], v[13:14]
	v_fma_f64 v[91:92], v[29:30], v[11:12], -v[0:1]
	ds_read_b128 v[11:14], v2 offset:2496
	ds_read_b128 v[29:32], v2
	s_waitcnt vmcnt(0) lgkmcnt(1)
	v_mul_f64 v[0:1], v[11:12], v[17:18]
	v_fma_f64 v[95:96], v[13:14], v[15:16], v[0:1]
	v_mul_f64 v[0:1], v[13:14], v[17:18]
	v_fma_f64 v[97:98], v[11:12], v[15:16], -v[0:1]
	s_clause 0x1
	global_load_dwordx4 v[11:14], v43, s[20:21] offset:176
	global_load_dwordx4 v[15:18], v43, s[20:21] offset:160
	ds_read_b128 v[67:70], v2 offset:29952
	s_waitcnt vmcnt(1) lgkmcnt(0)
	v_mul_f64 v[0:1], v[67:68], v[13:14]
	v_fma_f64 v[57:58], v[69:70], v[11:12], v[0:1]
	v_mul_f64 v[0:1], v[69:70], v[13:14]
	v_fma_f64 v[63:64], v[67:68], v[11:12], -v[0:1]
	ds_read_b128 v[11:14], v2 offset:27456
	ds_read_b128 v[135:138], v2 offset:24960
	s_waitcnt vmcnt(0) lgkmcnt(1)
	v_mul_f64 v[0:1], v[11:12], v[17:18]
	v_fma_f64 v[69:70], v[13:14], v[15:16], v[0:1]
	v_mul_f64 v[0:1], v[13:14], v[17:18]
	v_mul_f64 v[17:18], v[141:142], v[5:6]
	;; [unrolled: 1-line block ×4, first 2 shown]
	v_fma_f64 v[73:74], v[11:12], v[15:16], -v[0:1]
	s_waitcnt lgkmcnt(0)
	v_mul_f64 v[0:1], v[135:136], v[133:134]
	v_mul_f64 v[11:12], v[23:24], v[35:36]
	v_fma_f64 v[17:18], v[3:4], v[139:140], -v[17:18]
	v_mul_f64 v[15:16], v[93:94], v[105:106]
	v_fma_f64 v[13:14], v[103:104], v[93:94], -v[13:14]
	v_add_f64 v[139:140], v[91:92], v[73:74]
	v_fma_f64 v[77:78], v[137:138], v[131:132], v[0:1]
	v_mul_f64 v[0:1], v[137:138], v[133:134]
	v_fma_f64 v[11:12], v[33:34], v[41:42], v[11:12]
	v_fma_f64 v[15:16], v[103:104], v[99:100], v[15:16]
	v_add_f64 v[99:100], v[91:92], -v[73:74]
	v_add_f64 v[133:134], v[97:98], v[63:64]
	v_add_f64 v[137:138], v[85:86], -v[69:70]
	v_fma_f64 v[79:80], v[135:136], v[131:132], -v[0:1]
	v_mul_f64 v[0:1], v[41:42], v[35:36]
	v_add_f64 v[131:132], v[95:96], -v[57:58]
	v_mul_f64 v[197:198], v[137:138], s[10:11]
	v_mul_f64 v[221:222], v[137:138], s[6:7]
	;; [unrolled: 1-line block ×3, first 2 shown]
	v_fma_f64 v[0:1], v[33:34], v[23:24], -v[0:1]
	v_fma_f64 v[23:24], v[3:4], v[141:142], v[5:6]
	v_mul_f64 v[2:3], v[145:146], v[9:10]
	v_mul_f64 v[135:136], v[131:132], s[34:35]
	;; [unrolled: 1-line block ×6, first 2 shown]
	v_fma_f64 v[41:42], v[7:8], v[143:144], -v[2:3]
	v_mul_f64 v[2:3], v[143:144], v[9:10]
	v_add_f64 v[143:144], v[81:82], v[77:78]
	v_fma_f64 v[33:34], v[7:8], v[145:146], v[2:3]
	v_mul_f64 v[2:3], v[149:150], v[21:22]
	v_fma_f64 v[6:7], v[139:140], s[30:31], v[141:142]
	v_add_f64 v[145:146], v[83:84], -v[79:80]
	v_mul_f64 v[199:200], v[143:144], s[12:13]
	v_mul_f64 v[223:224], v[143:144], s[28:29]
	;; [unrolled: 1-line block ×3, first 2 shown]
	v_fma_f64 v[45:46], v[19:20], v[147:148], -v[2:3]
	v_mul_f64 v[2:3], v[147:148], v[21:22]
	v_mul_f64 v[147:148], v[143:144], s[26:27]
	v_fma_f64 v[43:44], v[19:20], v[149:150], v[2:3]
	v_mul_f64 v[2:3], v[153:154], v[39:40]
	v_add_f64 v[149:150], v[81:82], -v[77:78]
	v_mul_f64 v[20:21], v[131:132], s[8:9]
	v_fma_f64 v[47:48], v[37:38], v[151:152], -v[2:3]
	v_mul_f64 v[2:3], v[151:152], v[39:40]
	v_add_f64 v[151:152], v[83:84], v[79:80]
	v_mul_f64 v[201:202], v[149:150], s[6:7]
	v_mul_f64 v[225:226], v[149:150], s[42:43]
	;; [unrolled: 1-line block ×3, first 2 shown]
	v_fma_f64 v[103:104], v[37:38], v[153:154], v[2:3]
	v_mul_f64 v[2:3], v[157:158], v[109:110]
	v_mul_f64 v[153:154], v[149:150], s[18:19]
	v_fma_f64 v[105:106], v[107:108], v[155:156], -v[2:3]
	v_mul_f64 v[2:3], v[155:156], v[109:110]
	v_add_f64 v[155:156], v[71:72], v[55:56]
	v_fma_f64 v[107:108], v[107:108], v[157:158], v[2:3]
	v_mul_f64 v[2:3], v[159:160], v[113:114]
	v_add_f64 v[157:158], v[75:76], -v[61:62]
	v_mul_f64 v[203:204], v[155:156], s[22:23]
	v_mul_f64 v[227:228], v[155:156], s[14:15]
	;; [unrolled: 1-line block ×3, first 2 shown]
	v_fma_f64 v[109:110], v[111:112], v[161:162], v[2:3]
	v_mul_f64 v[2:3], v[161:162], v[113:114]
	v_add_f64 v[161:162], v[71:72], -v[55:56]
	v_fma_f64 v[111:112], v[111:112], v[159:160], -v[2:3]
	v_mul_f64 v[2:3], v[163:164], v[117:118]
	v_mul_f64 v[159:160], v[155:156], s[28:29]
	;; [unrolled: 1-line block ×5, first 2 shown]
	v_fma_f64 v[113:114], v[115:116], v[165:166], v[2:3]
	v_mul_f64 v[2:3], v[165:166], v[117:118]
	v_mul_f64 v[165:166], v[161:162], s[10:11]
	v_fma_f64 v[115:116], v[115:116], v[163:164], -v[2:3]
	v_mul_f64 v[2:3], v[167:168], v[121:122]
	v_add_f64 v[163:164], v[75:76], v[61:62]
	v_fma_f64 v[117:118], v[119:120], v[169:170], v[2:3]
	v_mul_f64 v[2:3], v[169:170], v[121:122]
	v_add_f64 v[121:122], v[95:96], v[57:58]
	v_add_f64 v[169:170], v[65:66], -v[53:54]
	v_fma_f64 v[119:120], v[119:120], v[167:168], -v[2:3]
	v_mul_f64 v[2:3], v[171:172], v[125:126]
	v_mul_f64 v[67:68], v[121:122], s[14:15]
	v_add_f64 v[167:168], v[59:60], v[51:52]
	v_mul_f64 v[191:192], v[121:122], s[30:31]
	v_mul_f64 v[215:216], v[121:122], s[26:27]
	;; [unrolled: 1-line block ×3, first 2 shown]
	v_fma_f64 v[2:3], v[123:124], v[173:174], v[2:3]
	buffer_store_dword v2, off, s[48:51], 0 offset:132 ; 4-byte Folded Spill
	buffer_store_dword v3, off, s[48:51], 0 offset:136 ; 4-byte Folded Spill
	v_mul_f64 v[2:3], v[173:174], v[125:126]
	v_add_f64 v[173:174], v[59:60], -v[51:52]
	v_mul_f64 v[207:208], v[167:168], s[26:27]
	v_mul_f64 v[231:232], v[167:168], s[30:31]
	;; [unrolled: 1-line block ×3, first 2 shown]
	v_fma_f64 v[2:3], v[123:124], v[171:172], -v[2:3]
	buffer_store_dword v2, off, s[48:51], 0 offset:100 ; 4-byte Folded Spill
	buffer_store_dword v3, off, s[48:51], 0 offset:104 ; 4-byte Folded Spill
	v_mul_f64 v[2:3], v[175:176], v[129:130]
	v_add_f64 v[123:124], v[97:98], -v[63:64]
	v_mul_f64 v[171:172], v[167:168], s[22:23]
	v_mul_f64 v[209:210], v[173:174], s[40:41]
	;; [unrolled: 1-line block ×4, first 2 shown]
	v_fma_f64 v[2:3], v[127:128], v[177:178], v[2:3]
	buffer_store_dword v2, off, s[48:51], 0 offset:108 ; 4-byte Folded Spill
	buffer_store_dword v3, off, s[48:51], 0 offset:112 ; 4-byte Folded Spill
	v_mul_f64 v[2:3], v[177:178], v[129:130]
	v_mul_f64 v[177:178], v[173:174], s[8:9]
	v_fma_f64 v[2:3], v[127:128], v[175:176], -v[2:3]
	v_add_f64 v[127:128], v[85:86], v[69:70]
	buffer_store_dword v2, off, s[48:51], 0 offset:76 ; 4-byte Folded Spill
	buffer_store_dword v3, off, s[48:51], 0 offset:80 ; 4-byte Folded Spill
	v_mul_f64 v[4:5], v[127:128], s[30:31]
	buffer_store_dword v4, off, s[48:51], 0 offset:140 ; 4-byte Folded Spill
	buffer_store_dword v5, off, s[48:51], 0 offset:144 ; 4-byte Folded Spill
	;; [unrolled: 1-line block ×4, first 2 shown]
	v_fma_f64 v[2:3], v[123:124], s[36:37], v[67:68]
	v_add_f64 v[175:176], v[65:66], v[53:54]
	v_mul_f64 v[193:194], v[127:128], s[28:29]
	v_mul_f64 v[217:218], v[127:128], s[12:13]
	;; [unrolled: 1-line block ×3, first 2 shown]
	v_add_f64 v[2:3], v[31:32], v[2:3]
	v_fma_f64 v[4:5], v[99:100], s[44:45], v[4:5]
	v_add_f64 v[179:180], v[87:88], -v[189:190]
	v_add_f64 v[185:186], v[87:88], v[189:190]
	v_add_f64 v[2:3], v[4:5], v[2:3]
	v_fma_f64 v[4:5], v[133:134], s[14:15], v[135:136]
	v_mul_f64 v[93:94], v[179:180], s[6:7]
	v_mul_f64 v[129:130], v[185:186], s[12:13]
	;; [unrolled: 1-line block ×8, first 2 shown]
	v_add_f64 v[4:5], v[29:30], v[4:5]
	v_add_f64 v[4:5], v[6:7], v[4:5]
	v_fma_f64 v[6:7], v[145:146], s[40:41], v[147:148]
	v_add_f64 v[2:3], v[6:7], v[2:3]
	v_fma_f64 v[6:7], v[151:152], s[26:27], v[153:154]
	;; [unrolled: 2-line block ×8, first 2 shown]
	v_add_f64 v[2:3], v[7:8], v[2:3]
	v_mul_f64 v[7:8], v[5:6], v[11:12]
	v_mul_f64 v[9:10], v[2:3], v[11:12]
	v_fma_f64 v[2:3], v[2:3], v[0:1], v[7:8]
	v_fma_f64 v[7:8], v[99:100], s[42:43], v[193:194]
	v_fma_f64 v[0:1], v[5:6], v[0:1], -v[9:10]
	v_fma_f64 v[5:6], v[123:124], s[44:45], v[191:192]
	v_fma_f64 v[9:10], v[139:140], s[28:29], v[197:198]
	buffer_store_dword v0, off, s[48:51], 0 offset:12 ; 4-byte Folded Spill
	buffer_store_dword v1, off, s[48:51], 0 offset:16 ; 4-byte Folded Spill
	;; [unrolled: 1-line block ×4, first 2 shown]
	v_add_f64 v[5:6], v[31:32], v[5:6]
	v_add_f64 v[5:6], v[7:8], v[5:6]
	v_fma_f64 v[7:8], v[133:134], s[30:31], v[195:196]
	v_add_f64 v[7:8], v[29:30], v[7:8]
	v_add_f64 v[7:8], v[9:10], v[7:8]
	v_fma_f64 v[9:10], v[145:146], s[46:47], v[199:200]
	v_add_f64 v[5:6], v[9:10], v[5:6]
	v_fma_f64 v[9:10], v[151:152], s[12:13], v[201:202]
	;; [unrolled: 2-line block ×8, first 2 shown]
	v_add_f64 v[5:6], v[7:8], v[5:6]
	v_mul_f64 v[7:8], v[9:10], v[15:16]
	v_mul_f64 v[11:12], v[5:6], v[15:16]
	v_fma_f64 v[2:3], v[5:6], v[13:14], v[7:8]
	v_fma_f64 v[6:7], v[181:182], s[30:31], v[37:38]
	v_fma_f64 v[0:1], v[9:10], v[13:14], -v[11:12]
	v_fma_f64 v[9:10], v[123:124], s[40:41], v[215:216]
	v_fma_f64 v[11:12], v[99:100], s[46:47], v[217:218]
	;; [unrolled: 1-line block ×3, first 2 shown]
	buffer_store_dword v0, off, s[48:51], 0 offset:28 ; 4-byte Folded Spill
	buffer_store_dword v1, off, s[48:51], 0 offset:32 ; 4-byte Folded Spill
	;; [unrolled: 1-line block ×4, first 2 shown]
	v_add_f64 v[9:10], v[31:32], v[9:10]
	v_add_f64 v[9:10], v[11:12], v[9:10]
	v_fma_f64 v[11:12], v[133:134], s[26:27], v[219:220]
	v_add_f64 v[11:12], v[29:30], v[11:12]
	v_add_f64 v[11:12], v[13:14], v[11:12]
	v_fma_f64 v[13:14], v[145:146], s[10:11], v[223:224]
	v_add_f64 v[9:10], v[13:14], v[9:10]
	v_fma_f64 v[13:14], v[151:152], s[28:29], v[225:226]
	;; [unrolled: 2-line block ×8, first 2 shown]
	v_add_f64 v[9:10], v[11:12], v[9:10]
	v_mul_f64 v[11:12], v[13:14], v[23:24]
	v_mul_f64 v[15:16], v[9:10], v[23:24]
	v_fma_f64 v[2:3], v[9:10], v[17:18], v[11:12]
	v_mul_f64 v[8:9], v[127:128], s[26:27]
	v_fma_f64 v[0:1], v[13:14], v[17:18], -v[15:16]
	v_fma_f64 v[13:14], v[123:124], s[42:43], v[239:240]
	v_fma_f64 v[15:16], v[99:100], s[8:9], v[241:242]
	;; [unrolled: 1-line block ×3, first 2 shown]
	buffer_store_dword v0, off, s[48:51], 0 offset:44 ; 4-byte Folded Spill
	buffer_store_dword v1, off, s[48:51], 0 offset:48 ; 4-byte Folded Spill
	;; [unrolled: 1-line block ×4, first 2 shown]
	v_add_f64 v[13:14], v[31:32], v[13:14]
	v_fma_f64 v[2:3], v[175:176], s[12:13], v[39:40]
	v_fma_f64 v[10:11], v[99:100], s[18:19], v[8:9]
	v_mul_f64 v[0:1], v[185:186], s[28:29]
	v_fma_f64 v[8:9], v[99:100], s[40:41], v[8:9]
	v_add_f64 v[13:14], v[15:16], v[13:14]
	v_fma_f64 v[15:16], v[133:134], s[28:29], v[243:244]
	v_add_f64 v[15:16], v[29:30], v[15:16]
	v_add_f64 v[15:16], v[17:18], v[15:16]
	v_fma_f64 v[17:18], v[145:146], s[34:35], v[247:248]
	v_add_f64 v[13:14], v[17:18], v[13:14]
	v_fma_f64 v[17:18], v[151:152], s[14:15], v[249:250]
	;; [unrolled: 2-line block ×5, first 2 shown]
	v_add_f64 v[2:3], v[2:3], v[15:16]
	v_add_f64 v[13:14], v[17:18], v[13:14]
	v_fma_f64 v[15:16], v[187:188], s[24:25], v[35:36]
	v_add_f64 v[2:3], v[6:7], v[2:3]
	v_mul_f64 v[6:7], v[149:150], s[24:25]
	v_add_f64 v[13:14], v[15:16], v[13:14]
	v_mul_f64 v[15:16], v[2:3], v[33:34]
	v_mul_f64 v[17:18], v[13:14], v[33:34]
	v_fma_f64 v[4:5], v[13:14], v[41:42], v[15:16]
	v_mul_f64 v[14:15], v[121:122], s[22:23]
	v_fma_f64 v[2:3], v[2:3], v[41:42], -v[17:18]
	v_fma_f64 v[12:13], v[133:134], s[22:23], v[20:21]
	buffer_store_dword v2, off, s[48:51], 0 offset:60 ; 4-byte Folded Spill
	buffer_store_dword v3, off, s[48:51], 0 offset:64 ; 4-byte Folded Spill
	;; [unrolled: 1-line block ×4, first 2 shown]
	v_fma_f64 v[17:18], v[123:124], s[38:39], v[14:15]
	v_add_f64 v[12:13], v[29:30], v[12:13]
	v_mul_f64 v[4:5], v[161:162], s[46:47]
	v_mul_f64 v[2:3], v[179:180], s[10:11]
	v_fma_f64 v[14:15], v[123:124], s[8:9], v[14:15]
	v_add_f64 v[17:18], v[31:32], v[17:18]
	v_add_f64 v[14:15], v[31:32], v[14:15]
	;; [unrolled: 1-line block ×3, first 2 shown]
	v_mul_f64 v[18:19], v[137:138], s[40:41]
	v_add_f64 v[8:9], v[8:9], v[14:15]
	v_fma_f64 v[16:17], v[139:140], s[26:27], v[18:19]
	v_add_f64 v[12:13], v[16:17], v[12:13]
	v_mul_f64 v[16:17], v[143:144], s[30:31]
	v_fma_f64 v[23:24], v[145:146], s[44:45], v[16:17]
	v_fma_f64 v[14:15], v[145:146], s[24:25], v[16:17]
	v_fma_f64 v[16:17], v[139:140], s[26:27], -v[18:19]
	v_fma_f64 v[18:19], v[151:152], s[12:13], -v[201:202]
	v_add_f64 v[10:11], v[23:24], v[10:11]
	v_fma_f64 v[23:24], v[151:152], s[30:31], v[6:7]
	v_add_f64 v[8:9], v[14:15], v[8:9]
	v_fma_f64 v[6:7], v[151:152], s[30:31], -v[6:7]
	v_add_f64 v[12:13], v[23:24], v[12:13]
	v_mul_f64 v[23:24], v[155:156], s[12:13]
	v_fma_f64 v[33:34], v[157:158], s[6:7], v[23:24]
	v_fma_f64 v[14:15], v[157:158], s[46:47], v[23:24]
	v_add_f64 v[10:11], v[33:34], v[10:11]
	v_fma_f64 v[33:34], v[163:164], s[12:13], v[4:5]
	v_add_f64 v[8:9], v[14:15], v[8:9]
	v_fma_f64 v[4:5], v[163:164], s[12:13], -v[4:5]
	v_add_f64 v[12:13], v[33:34], v[12:13]
	v_mul_f64 v[33:34], v[167:168], s[14:15]
	v_fma_f64 v[41:42], v[169:170], s[34:35], v[33:34]
	v_fma_f64 v[14:15], v[169:170], s[36:37], v[33:34]
	v_add_f64 v[10:11], v[41:42], v[10:11]
	v_mul_f64 v[41:42], v[173:174], s[36:37]
	v_add_f64 v[8:9], v[14:15], v[8:9]
	v_fma_f64 v[14:15], v[133:134], s[22:23], -v[20:21]
	v_fma_f64 v[20:21], v[151:152], s[26:27], -v[153:154]
	v_fma_f64 v[125:126], v[175:176], s[14:15], v[41:42]
	v_add_f64 v[14:15], v[29:30], v[14:15]
	v_add_f64 v[12:13], v[125:126], v[12:13]
	v_fma_f64 v[125:126], v[181:182], s[28:29], v[2:3]
	v_add_f64 v[14:15], v[16:17], v[14:15]
	v_fma_f64 v[2:3], v[181:182], s[28:29], -v[2:3]
	v_fma_f64 v[16:17], v[99:100], s[10:11], v[193:194]
	v_add_f64 v[12:13], v[125:126], v[12:13]
	v_fma_f64 v[125:126], v[187:188], s[42:43], v[0:1]
	v_add_f64 v[6:7], v[6:7], v[14:15]
	v_fma_f64 v[0:1], v[187:188], s[10:11], v[0:1]
	v_add_f64 v[14:15], v[31:32], v[95:96]
	v_add_f64 v[10:11], v[125:126], v[10:11]
	v_mul_f64 v[125:126], v[12:13], v[43:44]
	v_add_f64 v[4:5], v[4:5], v[6:7]
	v_fma_f64 v[6:7], v[175:176], s[14:15], -v[41:42]
	v_add_f64 v[0:1], v[0:1], v[8:9]
	v_add_f64 v[14:15], v[14:15], v[85:86]
	;; [unrolled: 1-line block ×3, first 2 shown]
	v_mul_f64 v[43:44], v[10:11], v[43:44]
	v_fma_f64 v[89:90], v[10:11], v[45:46], v[125:126]
	v_mul_f64 v[10:11], v[121:122], s[12:13]
	v_mul_f64 v[121:122], v[137:138], s[36:37]
	;; [unrolled: 1-line block ×6, first 2 shown]
	v_add_f64 v[4:5], v[6:7], v[4:5]
	v_mul_f64 v[6:7], v[0:1], v[109:110]
	v_add_f64 v[14:15], v[14:15], v[81:82]
	v_add_f64 v[8:9], v[8:9], v[91:92]
	v_fma_f64 v[87:88], v[12:13], v[45:46], -v[43:44]
	v_mul_f64 v[12:13], v[127:128], s[14:15]
	v_fma_f64 v[43:44], v[123:124], s[46:47], v[10:11]
	v_fma_f64 v[127:128], v[139:140], s[14:15], v[121:122]
	;; [unrolled: 1-line block ×3, first 2 shown]
	buffer_store_dword v87, off, s[48:51], 0 offset:84 ; 4-byte Folded Spill
	buffer_store_dword v88, off, s[48:51], 0 offset:88 ; 4-byte Folded Spill
	;; [unrolled: 1-line block ×4, first 2 shown]
	v_fma_f64 v[45:46], v[99:100], s[34:35], v[12:13]
	v_add_f64 v[43:44], v[31:32], v[43:44]
	v_fma_f64 v[12:13], v[99:100], s[36:37], v[12:13]
	v_add_f64 v[10:11], v[31:32], v[10:11]
	v_add_f64 v[2:3], v[2:3], v[4:5]
	v_add_f64 v[14:15], v[14:15], v[71:72]
	v_add_f64 v[8:9], v[8:9], v[83:84]
	v_add_f64 v[43:44], v[45:46], v[43:44]
	v_mul_f64 v[45:46], v[131:132], s[6:7]
	v_mul_f64 v[131:132], v[143:144], s[22:23]
	;; [unrolled: 1-line block ×5, first 2 shown]
	v_add_f64 v[10:11], v[12:13], v[10:11]
	v_mul_f64 v[4:5], v[2:3], v[109:110]
	v_add_f64 v[14:15], v[14:15], v[59:60]
	v_add_f64 v[8:9], v[8:9], v[75:76]
	v_fma_f64 v[125:126], v[133:134], s[12:13], v[45:46]
	v_fma_f64 v[12:13], v[133:134], s[12:13], -v[45:46]
	v_add_f64 v[8:9], v[8:9], v[65:66]
	v_add_f64 v[125:126], v[29:30], v[125:126]
	;; [unrolled: 1-line block ×5, first 2 shown]
	v_fma_f64 v[127:128], v[145:146], s[38:39], v[131:132]
	v_add_f64 v[8:9], v[8:9], v[49:50]
	v_add_f64 v[43:44], v[127:128], v[43:44]
	v_fma_f64 v[127:128], v[151:152], s[22:23], v[137:138]
	v_add_f64 v[8:9], v[8:9], v[53:54]
	v_add_f64 v[125:126], v[127:128], v[125:126]
	;; [unrolled: 3-line block ×6, first 2 shown]
	v_fma_f64 v[127:128], v[181:182], s[26:27], v[167:168]
	v_add_f64 v[125:126], v[127:128], v[125:126]
	v_fma_f64 v[127:128], v[187:188], s[18:19], v[173:174]
	v_add_f64 v[43:44], v[127:128], v[43:44]
	v_mul_f64 v[127:128], v[125:126], v[103:104]
	v_mul_f64 v[103:104], v[43:44], v[103:104]
	v_fma_f64 v[127:128], v[43:44], v[47:48], v[127:128]
	v_fma_f64 v[43:44], v[139:140], s[14:15], -v[121:122]
	v_fma_f64 v[125:126], v[125:126], v[47:48], -v[103:104]
	v_add_f64 v[12:13], v[43:44], v[12:13]
	v_fma_f64 v[43:44], v[145:146], s[8:9], v[131:132]
	v_add_f64 v[10:11], v[43:44], v[10:11]
	v_fma_f64 v[43:44], v[151:152], s[22:23], -v[137:138]
	v_add_f64 v[12:13], v[43:44], v[12:13]
	v_fma_f64 v[43:44], v[157:158], s[44:45], v[143:144]
	v_add_f64 v[10:11], v[43:44], v[10:11]
	v_fma_f64 v[43:44], v[163:164], s[30:31], -v[149:150]
	v_add_f64 v[12:13], v[43:44], v[12:13]
	v_fma_f64 v[43:44], v[169:170], s[10:11], v[155:156]
	v_add_f64 v[10:11], v[43:44], v[10:11]
	v_fma_f64 v[43:44], v[175:176], s[28:29], -v[161:162]
	v_add_f64 v[12:13], v[43:44], v[12:13]
	v_fma_f64 v[43:44], v[181:182], s[26:27], -v[167:168]
	v_add_f64 v[43:44], v[43:44], v[12:13]
	v_fma_f64 v[12:13], v[187:188], s[40:41], v[173:174]
	v_add_f64 v[10:11], v[12:13], v[10:11]
	v_mul_f64 v[12:13], v[43:44], v[107:108]
	v_mul_f64 v[45:46], v[10:11], v[107:108]
	v_fma_f64 v[12:13], v[10:11], v[105:106], v[12:13]
	v_fma_f64 v[10:11], v[43:44], v[105:106], -v[45:46]
	s_clause 0x3
	buffer_load_dword v45, off, s[48:51], 0 offset:116
	buffer_load_dword v46, off, s[48:51], 0 offset:120
	;; [unrolled: 1-line block ×4, first 2 shown]
	s_waitcnt vmcnt(2)
	v_mul_f64 v[43:44], v[45:46], v[27:28]
	s_waitcnt vmcnt(0)
	v_mul_f64 v[27:28], v[47:48], v[27:28]
	v_fma_f64 v[43:44], v[25:26], v[47:48], v[43:44]
	v_fma_f64 v[47:48], v[25:26], v[45:46], -v[27:28]
	v_fma_f64 v[27:28], v[0:1], v[111:112], v[4:5]
	v_fma_f64 v[0:1], v[123:124], s[10:11], v[239:240]
	v_fma_f64 v[25:26], v[2:3], v[111:112], -v[6:7]
	v_fma_f64 v[2:3], v[99:100], s[38:39], v[241:242]
	v_fma_f64 v[4:5], v[139:140], s[22:23], -v[245:246]
	v_mul_f64 v[22:23], v[8:9], v[43:44]
	v_add_f64 v[0:1], v[31:32], v[0:1]
	v_add_f64 v[0:1], v[2:3], v[0:1]
	v_fma_f64 v[2:3], v[145:146], s[36:37], v[247:248]
	v_add_f64 v[0:1], v[2:3], v[0:1]
	v_fma_f64 v[2:3], v[157:158], s[18:19], v[251:252]
	;; [unrolled: 2-line block ×3, first 2 shown]
	v_add_f64 v[0:1], v[2:3], v[0:1]
	v_fma_f64 v[2:3], v[133:134], s[28:29], -v[243:244]
	v_add_f64 v[2:3], v[29:30], v[2:3]
	v_add_f64 v[2:3], v[4:5], v[2:3]
	v_fma_f64 v[4:5], v[151:152], s[14:15], -v[249:250]
	v_add_f64 v[2:3], v[4:5], v[2:3]
	v_fma_f64 v[4:5], v[163:164], s[26:27], -v[253:254]
	;; [unrolled: 2-line block ×4, first 2 shown]
	v_add_f64 v[2:3], v[4:5], v[2:3]
	v_fma_f64 v[4:5], v[187:188], s[44:45], v[35:36]
	v_add_f64 v[0:1], v[4:5], v[0:1]
	v_mul_f64 v[4:5], v[2:3], v[113:114]
	v_mul_f64 v[6:7], v[0:1], v[113:114]
	v_fma_f64 v[89:90], v[0:1], v[115:116], v[4:5]
	v_fma_f64 v[0:1], v[123:124], s[18:19], v[215:216]
	v_fma_f64 v[4:5], v[139:140], s[12:13], -v[221:222]
	v_fma_f64 v[87:88], v[2:3], v[115:116], -v[6:7]
	v_fma_f64 v[2:3], v[99:100], s[6:7], v[217:218]
	v_add_f64 v[0:1], v[31:32], v[0:1]
	v_add_f64 v[0:1], v[2:3], v[0:1]
	v_fma_f64 v[2:3], v[145:146], s[42:43], v[223:224]
	v_add_f64 v[0:1], v[2:3], v[0:1]
	v_fma_f64 v[2:3], v[157:158], s[36:37], v[227:228]
	;; [unrolled: 2-line block ×3, first 2 shown]
	v_add_f64 v[0:1], v[2:3], v[0:1]
	v_fma_f64 v[2:3], v[133:134], s[26:27], -v[219:220]
	v_add_f64 v[2:3], v[29:30], v[2:3]
	v_add_f64 v[2:3], v[4:5], v[2:3]
	v_fma_f64 v[4:5], v[151:152], s[28:29], -v[225:226]
	v_add_f64 v[2:3], v[4:5], v[2:3]
	v_fma_f64 v[4:5], v[163:164], s[14:15], -v[229:230]
	;; [unrolled: 2-line block ×4, first 2 shown]
	v_add_f64 v[2:3], v[4:5], v[2:3]
	v_fma_f64 v[4:5], v[187:188], s[8:9], v[237:238]
	v_add_f64 v[0:1], v[4:5], v[0:1]
	v_mul_f64 v[4:5], v[2:3], v[117:118]
	v_mul_f64 v[6:7], v[0:1], v[117:118]
	v_fma_f64 v[105:106], v[0:1], v[119:120], v[4:5]
	v_fma_f64 v[0:1], v[123:124], s[24:25], v[191:192]
	v_fma_f64 v[4:5], v[133:134], s[30:31], -v[195:196]
	v_fma_f64 v[103:104], v[2:3], v[119:120], -v[6:7]
	;; [unrolled: 1-line block ×3, first 2 shown]
	v_add_f64 v[0:1], v[31:32], v[0:1]
	v_add_f64 v[4:5], v[29:30], v[4:5]
	v_fma_f64 v[2:3], v[123:124], s[34:35], v[67:68]
	v_add_f64 v[6:7], v[29:30], v[6:7]
	v_add_f64 v[0:1], v[16:17], v[0:1]
	v_fma_f64 v[16:17], v[145:146], s[6:7], v[199:200]
	v_add_f64 v[2:3], v[31:32], v[2:3]
	v_add_f64 v[0:1], v[16:17], v[0:1]
	v_fma_f64 v[16:17], v[157:158], s[38:39], v[203:204]
	v_add_f64 v[0:1], v[16:17], v[0:1]
	v_fma_f64 v[16:17], v[169:170], s[40:41], v[207:208]
	v_add_f64 v[0:1], v[16:17], v[0:1]
	s_clause 0x1
	buffer_load_dword v16, off, s[48:51], 0 offset:148
	buffer_load_dword v17, off, s[48:51], 0 offset:152
	s_waitcnt vmcnt(0)
	v_add_f64 v[14:15], v[14:15], v[16:17]
	v_fma_f64 v[16:17], v[139:140], s[28:29], -v[197:198]
	v_add_f64 v[14:15], v[14:15], v[189:190]
	v_add_f64 v[4:5], v[16:17], v[4:5]
	v_fma_f64 v[16:17], v[139:140], s[30:31], -v[141:142]
	v_add_f64 v[14:15], v[14:15], v[51:52]
	v_add_f64 v[4:5], v[18:19], v[4:5]
	s_clause 0x1
	buffer_load_dword v18, off, s[48:51], 0 offset:140
	buffer_load_dword v19, off, s[48:51], 0 offset:144
	v_add_f64 v[6:7], v[16:17], v[6:7]
	v_fma_f64 v[16:17], v[163:164], s[22:23], -v[205:206]
	v_add_f64 v[14:15], v[14:15], v[55:56]
	v_add_f64 v[6:7], v[20:21], v[6:7]
	;; [unrolled: 1-line block ×3, first 2 shown]
	v_fma_f64 v[16:17], v[145:146], s[18:19], v[147:148]
	v_fma_f64 v[20:21], v[175:176], s[26:27], -v[209:210]
	v_add_f64 v[14:15], v[14:15], v[77:78]
	v_add_f64 v[4:5], v[20:21], v[4:5]
	v_fma_f64 v[20:21], v[157:158], s[10:11], v[159:160]
	v_add_f64 v[14:15], v[14:15], v[69:70]
	v_add_f64 v[14:15], v[14:15], v[57:58]
	v_fma_f64 v[45:46], v[14:15], v[47:48], v[22:23]
	v_mul_f64 v[33:34], v[14:15], v[43:44]
	v_fma_f64 v[43:44], v[8:9], v[47:48], -v[33:34]
	s_waitcnt vmcnt(0)
	v_fma_f64 v[18:19], v[99:100], s[24:25], v[18:19]
	v_add_f64 v[2:3], v[18:19], v[2:3]
	v_fma_f64 v[18:19], v[163:164], s[28:29], -v[165:166]
	v_add_f64 v[2:3], v[16:17], v[2:3]
	v_fma_f64 v[16:17], v[175:176], s[22:23], -v[177:178]
	;; [unrolled: 2-line block ×4, first 2 shown]
	v_add_f64 v[6:7], v[16:17], v[6:7]
	v_add_f64 v[4:5], v[18:19], v[4:5]
	v_fma_f64 v[18:19], v[169:170], s[8:9], v[171:172]
	v_fma_f64 v[16:17], v[187:188], s[36:37], v[213:214]
	v_add_f64 v[6:7], v[20:21], v[6:7]
	s_clause 0x1
	buffer_load_dword v20, off, s[48:51], 0 offset:132
	buffer_load_dword v21, off, s[48:51], 0 offset:136
	v_add_f64 v[2:3], v[18:19], v[2:3]
	v_add_f64 v[0:1], v[16:17], v[0:1]
	v_fma_f64 v[16:17], v[187:188], s[6:7], v[129:130]
	buffer_load_dword v24, off, s[48:51], 0 offset:316 ; 4-byte Folded Reload
	v_add_f64 v[2:3], v[16:17], v[2:3]
	s_clause 0x4
	buffer_load_dword v16, off, s[48:51], 0 offset:4
	buffer_load_dword v37, off, s[48:51], 0 offset:108
	;; [unrolled: 1-line block ×5, first 2 shown]
	s_waitcnt vmcnt(6)
	v_mul_f64 v[18:19], v[4:5], v[20:21]
	v_mul_f64 v[20:21], v[0:1], v[20:21]
	s_waitcnt vmcnt(5)
	v_mul_hi_u32 v24, 0x1a41a42, v24
	s_waitcnt vmcnt(4)
	v_mad_u32_u24 v24, 0xa9, v24, v16
	s_waitcnt vmcnt(2)
	v_mul_f64 v[16:17], v[6:7], v[37:38]
	s_waitcnt vmcnt(0)
	v_fma_f64 v[31:32], v[0:1], v[29:30], v[18:19]
	v_fma_f64 v[29:30], v[4:5], v[29:30], -v[20:21]
	s_clause 0x3
	buffer_load_dword v19, off, s[48:51], 0 offset:308
	buffer_load_dword v20, off, s[48:51], 0 offset:312
	;; [unrolled: 1-line block ×4, first 2 shown]
	v_mad_u64_u32 v[35:36], null, s0, v24, 0
	v_mul_f64 v[14:15], v[2:3], v[37:38]
	v_add_nc_u32_e32 v18, 26, v24
	v_mov_b32_e32 v1, v36
	s_waitcnt vmcnt(2)
	v_mov_b32_e32 v0, v20
	s_waitcnt vmcnt(0)
	v_fma_f64 v[39:40], v[2:3], v[21:22], v[16:17]
	v_fma_f64 v[37:38], v[6:7], v[21:22], -v[14:15]
	v_add_nc_u32_e32 v21, 0x4e, v24
	v_mad_u64_u32 v[4:5], null, s3, v255, v[0:1]
	v_add_nc_u32_e32 v5, 13, v24
	v_mad_u64_u32 v[0:1], null, s1, v24, v[1:2]
	s_lshl_b64 s[2:3], s[4:5], 4
	v_mad_u64_u32 v[8:9], null, s0, v5, 0
	v_mov_b32_e32 v20, v4
	s_add_u32 s2, s16, s2
	v_mov_b32_e32 v36, v0
	v_mad_u64_u32 v[0:1], null, s0, v18, 0
	v_lshlrev_b64 v[3:4], 4, v[19:20]
	v_mov_b32_e32 v2, v9
	s_addc_u32 s3, s17, s3
	v_mad_u64_u32 v[16:17], null, s1, v5, v[2:3]
	v_add_co_u32 v19, vcc_lo, s2, v3
	v_lshlrev_b64 v[2:3], 4, v[35:36]
	v_add_co_ci_u32_e32 v20, vcc_lo, s3, v4, vcc_lo
	v_add_nc_u32_e32 v17, 52, v24
	v_mov_b32_e32 v9, v16
	v_add_nc_u32_e32 v16, 39, v24
	v_mad_u64_u32 v[4:5], null, s1, v18, v[1:2]
	v_add_co_u32 v1, vcc_lo, v19, v2
	v_lshlrev_b64 v[5:6], 4, v[8:9]
	v_add_co_ci_u32_e32 v2, vcc_lo, v20, v3, vcc_lo
	v_mad_u64_u32 v[7:8], null, s0, v16, 0
	global_store_dwordx4 v[1:2], v[43:46], off
	v_add_co_u32 v2, vcc_lo, v19, v5
	v_add_co_ci_u32_e32 v3, vcc_lo, v20, v6, vcc_lo
	v_mad_u64_u32 v[5:6], null, s0, v17, 0
	v_mov_b32_e32 v1, v4
	v_mov_b32_e32 v4, v8
	global_store_dwordx4 v[2:3], v[37:40], off
	v_lshlrev_b64 v[0:1], 4, v[0:1]
	v_mad_u64_u32 v[8:9], null, s1, v16, v[4:5]
	v_add_nc_u32_e32 v9, 0x41, v24
	v_mov_b32_e32 v4, v6
	v_add_co_u32 v0, vcc_lo, v19, v0
	v_mad_u64_u32 v[14:15], null, s0, v9, 0
	v_mad_u64_u32 v[16:17], null, s1, v17, v[4:5]
	;; [unrolled: 1-line block ×3, first 2 shown]
	v_add_co_ci_u32_e32 v1, vcc_lo, v20, v1, vcc_lo
	v_mov_b32_e32 v2, v15
	v_mov_b32_e32 v6, v16
	global_store_dwordx4 v[0:1], v[29:32], off
	v_lshlrev_b64 v[0:1], 4, v[7:8]
	v_mad_u64_u32 v[2:3], null, s1, v9, v[2:3]
	v_lshlrev_b64 v[4:5], 4, v[5:6]
	v_mov_b32_e32 v3, v18
	v_add_nc_u32_e32 v9, 0x5b, v24
	v_add_co_u32 v0, vcc_lo, v19, v0
	v_add_co_ci_u32_e32 v1, vcc_lo, v20, v1, vcc_lo
	v_mad_u64_u32 v[6:7], null, s1, v21, v[3:4]
	v_mov_b32_e32 v15, v2
	v_mad_u64_u32 v[7:8], null, s0, v9, 0
	v_add_co_u32 v2, vcc_lo, v19, v4
	v_add_co_ci_u32_e32 v3, vcc_lo, v20, v5, vcc_lo
	v_mov_b32_e32 v18, v6
	v_lshlrev_b64 v[4:5], 4, v[14:15]
	global_store_dwordx4 v[0:1], v[103:106], off
	global_store_dwordx4 v[2:3], v[87:90], off
	v_mov_b32_e32 v0, v8
	v_lshlrev_b64 v[1:2], 4, v[17:18]
	v_add_nc_u32_e32 v14, 0x75, v24
	v_add_co_u32 v3, vcc_lo, v19, v4
	v_add_co_ci_u32_e32 v4, vcc_lo, v20, v5, vcc_lo
	v_mad_u64_u32 v[8:9], null, s1, v9, v[0:1]
	v_add_co_u32 v0, vcc_lo, v19, v1
	v_add_nc_u32_e32 v9, 0x68, v24
	v_add_co_ci_u32_e32 v1, vcc_lo, v20, v2, vcc_lo
	global_store_dwordx4 v[3:4], v[25:28], off
	v_mad_u64_u32 v[2:3], null, s0, v14, 0
	v_mad_u64_u32 v[5:6], null, s0, v9, 0
	global_store_dwordx4 v[0:1], v[10:13], off
	v_add_nc_u32_e32 v12, 0x82, v24
	v_lshlrev_b64 v[0:1], 4, v[7:8]
	v_add_nc_u32_e32 v15, 0x8f, v24
	v_add_nc_u32_e32 v16, 0x9c, v24
	v_mad_u64_u32 v[7:8], null, s0, v12, 0
	v_mov_b32_e32 v4, v6
	v_add_co_u32 v0, vcc_lo, v19, v0
	v_add_co_ci_u32_e32 v1, vcc_lo, v20, v1, vcc_lo
	v_mad_u64_u32 v[9:10], null, s1, v9, v[4:5]
	v_mad_u64_u32 v[3:4], null, s1, v14, v[3:4]
	v_mov_b32_e32 v4, v8
	v_mad_u64_u32 v[10:11], null, s0, v15, 0
	global_store_dwordx4 v[0:1], v[125:128], off
	v_mov_b32_e32 v6, v9
	v_mad_u64_u32 v[12:13], null, s1, v12, v[4:5]
	v_mad_u64_u32 v[13:14], null, s0, v16, 0
	v_mov_b32_e32 v0, v11
	v_lshlrev_b64 v[2:3], 4, v[2:3]
	v_lshlrev_b64 v[4:5], 4, v[5:6]
	v_mov_b32_e32 v8, v12
	v_mad_u64_u32 v[0:1], null, s1, v15, v[0:1]
	v_mov_b32_e32 v1, v14
	v_add_co_u32 v4, vcc_lo, v19, v4
	v_add_co_ci_u32_e32 v5, vcc_lo, v20, v5, vcc_lo
	v_mad_u64_u32 v[14:15], null, s1, v16, v[1:2]
	v_mov_b32_e32 v11, v0
	v_add_co_u32 v0, vcc_lo, v19, v2
	v_lshlrev_b64 v[6:7], 4, v[7:8]
	v_add_co_ci_u32_e32 v1, vcc_lo, v20, v3, vcc_lo
	v_lshlrev_b64 v[2:3], 4, v[10:11]
	v_lshlrev_b64 v[8:9], 4, v[13:14]
	s_clause 0x3
	buffer_load_dword v10, off, s[48:51], 0 offset:84
	buffer_load_dword v11, off, s[48:51], 0 offset:88
	;; [unrolled: 1-line block ×4, first 2 shown]
	v_add_co_u32 v6, vcc_lo, v19, v6
	v_add_co_ci_u32_e32 v7, vcc_lo, v20, v7, vcc_lo
	v_add_co_u32 v2, vcc_lo, v19, v2
	v_add_co_ci_u32_e32 v3, vcc_lo, v20, v3, vcc_lo
	;; [unrolled: 2-line block ×3, first 2 shown]
	s_waitcnt vmcnt(0)
	global_store_dwordx4 v[4:5], v[10:13], off
	s_clause 0x3
	buffer_load_dword v10, off, s[48:51], 0 offset:60
	buffer_load_dword v11, off, s[48:51], 0 offset:64
	buffer_load_dword v12, off, s[48:51], 0 offset:68
	buffer_load_dword v13, off, s[48:51], 0 offset:72
	s_waitcnt vmcnt(0)
	global_store_dwordx4 v[0:1], v[10:13], off
	s_clause 0x3
	buffer_load_dword v10, off, s[48:51], 0 offset:44
	buffer_load_dword v11, off, s[48:51], 0 offset:48
	buffer_load_dword v12, off, s[48:51], 0 offset:52
	buffer_load_dword v13, off, s[48:51], 0 offset:56
	;; [unrolled: 7-line block ×4, first 2 shown]
	s_waitcnt vmcnt(0)
	global_store_dwordx4 v[8:9], v[0:3], off
.LBB0_17:
	s_endpgm
	.section	.rodata,"a",@progbits
	.p2align	6, 0x0
	.amdhsa_kernel fft_rtc_fwd_len169_factors_13_13_wgs_156_tpt_13_dp_ip_CI_sbcc_twdbase6_3step_dirReg_intrinsicRead
		.amdhsa_group_segment_fixed_size 0
		.amdhsa_private_segment_fixed_size 324
		.amdhsa_kernarg_size 96
		.amdhsa_user_sgpr_count 6
		.amdhsa_user_sgpr_private_segment_buffer 1
		.amdhsa_user_sgpr_dispatch_ptr 0
		.amdhsa_user_sgpr_queue_ptr 0
		.amdhsa_user_sgpr_kernarg_segment_ptr 1
		.amdhsa_user_sgpr_dispatch_id 0
		.amdhsa_user_sgpr_flat_scratch_init 0
		.amdhsa_user_sgpr_private_segment_size 0
		.amdhsa_wavefront_size32 1
		.amdhsa_uses_dynamic_stack 0
		.amdhsa_system_sgpr_private_segment_wavefront_offset 1
		.amdhsa_system_sgpr_workgroup_id_x 1
		.amdhsa_system_sgpr_workgroup_id_y 0
		.amdhsa_system_sgpr_workgroup_id_z 0
		.amdhsa_system_sgpr_workgroup_info 0
		.amdhsa_system_vgpr_workitem_id 0
		.amdhsa_next_free_vgpr 256
		.amdhsa_next_free_sgpr 52
		.amdhsa_reserve_vcc 1
		.amdhsa_reserve_flat_scratch 0
		.amdhsa_float_round_mode_32 0
		.amdhsa_float_round_mode_16_64 0
		.amdhsa_float_denorm_mode_32 3
		.amdhsa_float_denorm_mode_16_64 3
		.amdhsa_dx10_clamp 1
		.amdhsa_ieee_mode 1
		.amdhsa_fp16_overflow 0
		.amdhsa_workgroup_processor_mode 1
		.amdhsa_memory_ordered 1
		.amdhsa_forward_progress 0
		.amdhsa_shared_vgpr_count 0
		.amdhsa_exception_fp_ieee_invalid_op 0
		.amdhsa_exception_fp_denorm_src 0
		.amdhsa_exception_fp_ieee_div_zero 0
		.amdhsa_exception_fp_ieee_overflow 0
		.amdhsa_exception_fp_ieee_underflow 0
		.amdhsa_exception_fp_ieee_inexact 0
		.amdhsa_exception_int_div_zero 0
	.end_amdhsa_kernel
	.text
.Lfunc_end0:
	.size	fft_rtc_fwd_len169_factors_13_13_wgs_156_tpt_13_dp_ip_CI_sbcc_twdbase6_3step_dirReg_intrinsicRead, .Lfunc_end0-fft_rtc_fwd_len169_factors_13_13_wgs_156_tpt_13_dp_ip_CI_sbcc_twdbase6_3step_dirReg_intrinsicRead
                                        ; -- End function
	.section	.AMDGPU.csdata,"",@progbits
; Kernel info:
; codeLenInByte = 15032
; NumSgprs: 54
; NumVgprs: 256
; ScratchSize: 324
; MemoryBound: 0
; FloatMode: 240
; IeeeMode: 1
; LDSByteSize: 0 bytes/workgroup (compile time only)
; SGPRBlocks: 6
; VGPRBlocks: 31
; NumSGPRsForWavesPerEU: 54
; NumVGPRsForWavesPerEU: 256
; Occupancy: 4
; WaveLimiterHint : 1
; COMPUTE_PGM_RSRC2:SCRATCH_EN: 1
; COMPUTE_PGM_RSRC2:USER_SGPR: 6
; COMPUTE_PGM_RSRC2:TRAP_HANDLER: 0
; COMPUTE_PGM_RSRC2:TGID_X_EN: 1
; COMPUTE_PGM_RSRC2:TGID_Y_EN: 0
; COMPUTE_PGM_RSRC2:TGID_Z_EN: 0
; COMPUTE_PGM_RSRC2:TIDIG_COMP_CNT: 0
	.text
	.p2alignl 6, 3214868480
	.fill 48, 4, 3214868480
	.type	__hip_cuid_e846e0da232c0747,@object ; @__hip_cuid_e846e0da232c0747
	.section	.bss,"aw",@nobits
	.globl	__hip_cuid_e846e0da232c0747
__hip_cuid_e846e0da232c0747:
	.byte	0                               ; 0x0
	.size	__hip_cuid_e846e0da232c0747, 1

	.ident	"AMD clang version 19.0.0git (https://github.com/RadeonOpenCompute/llvm-project roc-6.4.0 25133 c7fe45cf4b819c5991fe208aaa96edf142730f1d)"
	.section	".note.GNU-stack","",@progbits
	.addrsig
	.addrsig_sym __hip_cuid_e846e0da232c0747
	.amdgpu_metadata
---
amdhsa.kernels:
  - .args:
      - .actual_access:  read_only
        .address_space:  global
        .offset:         0
        .size:           8
        .value_kind:     global_buffer
      - .address_space:  global
        .offset:         8
        .size:           8
        .value_kind:     global_buffer
      - .offset:         16
        .size:           8
        .value_kind:     by_value
      - .actual_access:  read_only
        .address_space:  global
        .offset:         24
        .size:           8
        .value_kind:     global_buffer
      - .actual_access:  read_only
        .address_space:  global
        .offset:         32
        .size:           8
        .value_kind:     global_buffer
      - .offset:         40
        .size:           8
        .value_kind:     by_value
      - .actual_access:  read_only
        .address_space:  global
        .offset:         48
        .size:           8
        .value_kind:     global_buffer
      - .actual_access:  read_only
        .address_space:  global
        .offset:         56
        .size:           8
        .value_kind:     global_buffer
      - .offset:         64
        .size:           4
        .value_kind:     by_value
      - .actual_access:  read_only
        .address_space:  global
        .offset:         72
        .size:           8
        .value_kind:     global_buffer
      - .actual_access:  read_only
        .address_space:  global
        .offset:         80
        .size:           8
        .value_kind:     global_buffer
      - .address_space:  global
        .offset:         88
        .size:           8
        .value_kind:     global_buffer
    .group_segment_fixed_size: 0
    .kernarg_segment_align: 8
    .kernarg_segment_size: 96
    .language:       OpenCL C
    .language_version:
      - 2
      - 0
    .max_flat_workgroup_size: 156
    .name:           fft_rtc_fwd_len169_factors_13_13_wgs_156_tpt_13_dp_ip_CI_sbcc_twdbase6_3step_dirReg_intrinsicRead
    .private_segment_fixed_size: 324
    .sgpr_count:     54
    .sgpr_spill_count: 0
    .symbol:         fft_rtc_fwd_len169_factors_13_13_wgs_156_tpt_13_dp_ip_CI_sbcc_twdbase6_3step_dirReg_intrinsicRead.kd
    .uniform_work_group_size: 1
    .uses_dynamic_stack: false
    .vgpr_count:     256
    .vgpr_spill_count: 107
    .wavefront_size: 32
    .workgroup_processor_mode: 1
amdhsa.target:   amdgcn-amd-amdhsa--gfx1030
amdhsa.version:
  - 1
  - 2
...

	.end_amdgpu_metadata
